;; amdgpu-corpus repo=ROCm/rocFFT kind=compiled arch=gfx1201 opt=O3
	.text
	.amdgcn_target "amdgcn-amd-amdhsa--gfx1201"
	.amdhsa_code_object_version 6
	.protected	bluestein_single_back_len1496_dim1_dp_op_CI_CI ; -- Begin function bluestein_single_back_len1496_dim1_dp_op_CI_CI
	.globl	bluestein_single_back_len1496_dim1_dp_op_CI_CI
	.p2align	8
	.type	bluestein_single_back_len1496_dim1_dp_op_CI_CI,@function
bluestein_single_back_len1496_dim1_dp_op_CI_CI: ; @bluestein_single_back_len1496_dim1_dp_op_CI_CI
; %bb.0:
	s_load_b128 s[4:7], s[0:1], 0x28
	v_mul_u32_u24_e32 v1, 0x15f, v0
	s_mov_b32 s2, exec_lo
	v_mov_b32_e32 v4, 0
	s_delay_alu instid0(VALU_DEP_2) | instskip(NEXT) | instid1(VALU_DEP_1)
	v_lshrrev_b32_e32 v1, 16, v1
	v_add_nc_u32_e32 v3, ttmp9, v1
	s_delay_alu instid0(VALU_DEP_1)
	v_mov_b32_e32 v2, v3
	scratch_store_b64 off, v[2:3], off      ; 8-byte Folded Spill
	s_wait_kmcnt 0x0
	v_cmpx_gt_u64_e64 s[4:5], v[3:4]
	s_cbranch_execz .LBB0_23
; %bb.1:
	v_mul_lo_u16 v1, 0xbb, v1
	s_clause 0x1
	s_load_b64 s[12:13], s[0:1], 0x0
	s_load_b64 s[14:15], s[0:1], 0x38
	s_delay_alu instid0(VALU_DEP_1) | instskip(NEXT) | instid1(VALU_DEP_1)
	v_sub_nc_u16 v0, v0, v1
	v_and_b32_e32 v156, 0xffff, v0
	v_cmp_gt_u16_e32 vcc_lo, 0x58, v0
	s_delay_alu instid0(VALU_DEP_2)
	v_lshlrev_b32_e32 v255, 4, v156
	v_or_b32_e32 v0, 0x580, v156
	scratch_store_b32 off, v0, off offset:8 ; 4-byte Folded Spill
	s_and_saveexec_b32 s3, vcc_lo
	s_cbranch_execz .LBB0_3
; %bb.2:
	scratch_load_b64 v[0:1], off, off       ; 8-byte Folded Reload
	s_load_b64 s[4:5], s[0:1], 0x18
	v_or_b32_e32 v66, 0x580, v156
	s_wait_kmcnt 0x0
	s_load_b128 s[8:11], s[4:5], 0x0
	s_wait_kmcnt 0x0
	v_mad_co_u64_u32 v[60:61], null, s8, v156, 0
	v_mad_co_u64_u32 v[62:63], null, s8, v66, 0
	s_mul_u64 s[4:5], s[8:9], 0x580
	s_wait_loadcnt 0x0
	s_delay_alu instid0(VALU_DEP_2)
	v_dual_mov_b32 v33, v61 :: v_dual_mov_b32 v34, v0
	s_clause 0x7
	global_load_b128 v[0:3], v255, s[12:13]
	global_load_b128 v[4:7], v255, s[12:13] offset:1408
	global_load_b128 v[8:11], v255, s[12:13] offset:2816
	;; [unrolled: 1-line block ×7, first 2 shown]
	v_mad_co_u64_u32 v[56:57], null, s10, v34, 0
	v_mad_co_u64_u32 v[58:59], null, s9, v156, v[33:34]
	s_delay_alu instid0(VALU_DEP_1) | instskip(NEXT) | instid1(VALU_DEP_1)
	v_dual_mov_b32 v32, v57 :: v_dual_mov_b32 v61, v58
	v_mad_co_u64_u32 v[48:49], null, s11, v34, v[32:33]
	s_delay_alu instid0(VALU_DEP_2)
	v_lshlrev_b64_e32 v[60:61], 4, v[60:61]
	s_clause 0x3
	global_load_b128 v[32:35], v255, s[12:13] offset:11264
	global_load_b128 v[36:39], v255, s[12:13] offset:12672
	;; [unrolled: 1-line block ×4, first 2 shown]
	v_mov_b32_e32 v57, v48
	s_clause 0x1
	global_load_b128 v[48:51], v255, s[12:13] offset:16896
	global_load_b128 v[52:55], v255, s[12:13] offset:18304
	v_lshlrev_b64_e32 v[64:65], 4, v[56:57]
	global_load_b128 v[56:59], v255, s[12:13] offset:22528
	v_mad_co_u64_u32 v[66:67], null, s9, v66, v[63:64]
	v_add_co_u32 v67, s2, s6, v64
	s_delay_alu instid0(VALU_DEP_1) | instskip(NEXT) | instid1(VALU_DEP_2)
	v_add_co_ci_u32_e64 v70, s2, s7, v65, s2
	v_add_co_u32 v64, s2, v67, v60
	s_wait_alu 0xf1ff
	s_delay_alu instid0(VALU_DEP_2)
	v_add_co_ci_u32_e64 v65, s2, v70, v61, s2
	v_mov_b32_e32 v63, v66
	s_wait_alu 0xfffe
	v_add_co_u32 v68, s2, v64, s4
	s_wait_alu 0xf1ff
	v_add_co_ci_u32_e64 v69, s2, s5, v65, s2
	v_lshlrev_b64_e32 v[60:61], 4, v[62:63]
	s_delay_alu instid0(VALU_DEP_3) | instskip(SKIP_1) | instid1(VALU_DEP_3)
	v_add_co_u32 v72, s2, v68, s4
	s_wait_alu 0xf1ff
	v_add_co_ci_u32_e64 v73, s2, s5, v69, s2
	s_delay_alu instid0(VALU_DEP_3)
	v_add_co_u32 v60, s2, v67, v60
	s_wait_alu 0xf1ff
	v_add_co_ci_u32_e64 v61, s2, v70, v61, s2
	v_add_co_u32 v76, s2, v72, s4
	s_wait_alu 0xf1ff
	v_add_co_ci_u32_e64 v77, s2, s5, v73, s2
	global_load_b128 v[60:63], v[60:61], off
	v_add_co_u32 v80, s2, v76, s4
	s_wait_alu 0xf1ff
	v_add_co_ci_u32_e64 v81, s2, s5, v77, s2
	s_clause 0x1
	global_load_b128 v[64:67], v[64:65], off
	global_load_b128 v[68:71], v[68:69], off
	v_add_co_u32 v84, s2, v80, s4
	s_wait_alu 0xf1ff
	v_add_co_ci_u32_e64 v85, s2, s5, v81, s2
	s_clause 0x1
	global_load_b128 v[72:75], v[72:73], off
	global_load_b128 v[76:79], v[76:77], off
	v_add_co_u32 v88, s2, v84, s4
	s_wait_alu 0xf1ff
	v_add_co_ci_u32_e64 v89, s2, s5, v85, s2
	global_load_b128 v[80:83], v[80:81], off
	v_add_co_u32 v92, s2, v88, s4
	s_wait_alu 0xf1ff
	v_add_co_ci_u32_e64 v93, s2, s5, v89, s2
	;; [unrolled: 4-line block ×10, first 2 shown]
	global_load_b128 v[116:119], v[116:117], off
	global_load_b128 v[120:123], v[120:121], off
	s_clause 0x1
	global_load_b128 v[124:127], v255, s[12:13] offset:19712
	global_load_b128 v[128:131], v255, s[12:13] offset:21120
	global_load_b128 v[132:135], v[132:133], off
	s_wait_loadcnt 0x12
	v_mul_f64_e32 v[138:139], v[62:63], v[58:59]
	v_mul_f64_e32 v[171:172], v[60:61], v[58:59]
	s_wait_loadcnt 0x11
	v_mul_f64_e32 v[136:137], v[66:67], v[2:3]
	v_mul_f64_e32 v[2:3], v[64:65], v[2:3]
	;; [unrolled: 3-line block ×11, first 2 shown]
	v_fma_f64 v[64:65], v[64:65], v[0:1], v[136:137]
	v_fma_f64 v[66:67], v[66:67], v[0:1], -v[2:3]
	v_fma_f64 v[0:1], v[60:61], v[56:57], v[138:139]
	s_wait_loadcnt 0x7
	v_mul_f64_e32 v[159:160], v[106:107], v[42:43]
	v_mul_f64_e32 v[42:43], v[104:105], v[42:43]
	v_fma_f64 v[58:59], v[68:69], v[4:5], v[140:141]
	v_fma_f64 v[60:61], v[70:71], v[4:5], -v[6:7]
	v_fma_f64 v[4:5], v[72:73], v[8:9], v[142:143]
	s_wait_loadcnt 0x6
	v_mul_f64_e32 v[161:162], v[110:111], v[46:47]
	v_mul_f64_e32 v[46:47], v[108:109], v[46:47]
	v_fma_f64 v[6:7], v[74:75], v[8:9], -v[10:11]
	v_fma_f64 v[8:9], v[76:77], v[12:13], v[144:145]
	v_fma_f64 v[10:11], v[78:79], v[12:13], -v[14:15]
	s_wait_loadcnt 0x5
	v_mul_f64_e32 v[163:164], v[114:115], v[50:51]
	v_mul_f64_e32 v[50:51], v[112:113], v[50:51]
	s_wait_loadcnt 0x4
	v_mul_f64_e32 v[165:166], v[118:119], v[54:55]
	v_mul_f64_e32 v[54:55], v[116:117], v[54:55]
	;; [unrolled: 3-line block ×4, first 2 shown]
	v_fma_f64 v[12:13], v[80:81], v[16:17], v[146:147]
	v_fma_f64 v[14:15], v[82:83], v[16:17], -v[18:19]
	v_fma_f64 v[16:17], v[84:85], v[20:21], v[148:149]
	v_fma_f64 v[18:19], v[86:87], v[20:21], -v[22:23]
	;; [unrolled: 2-line block ×4, first 2 shown]
	v_fma_f64 v[2:3], v[62:63], v[56:57], -v[171:172]
	v_fma_f64 v[28:29], v[96:97], v[32:33], v[154:155]
	v_fma_f64 v[30:31], v[98:99], v[32:33], -v[34:35]
	v_fma_f64 v[32:33], v[100:101], v[36:37], v[157:158]
	v_fma_f64 v[34:35], v[102:103], v[36:37], -v[38:39]
	v_fma_f64 v[36:37], v[104:105], v[40:41], v[159:160]
	v_fma_f64 v[38:39], v[106:107], v[40:41], -v[42:43]
	v_fma_f64 v[40:41], v[108:109], v[44:45], v[161:162]
	v_fma_f64 v[42:43], v[110:111], v[44:45], -v[46:47]
	v_fma_f64 v[44:45], v[112:113], v[48:49], v[163:164]
	v_fma_f64 v[46:47], v[114:115], v[48:49], -v[50:51]
	v_fma_f64 v[48:49], v[116:117], v[52:53], v[165:166]
	v_fma_f64 v[50:51], v[118:119], v[52:53], -v[54:55]
	v_fma_f64 v[52:53], v[120:121], v[124:125], v[167:168]
	v_fma_f64 v[54:55], v[122:123], v[124:125], -v[126:127]
	v_fma_f64 v[68:69], v[132:133], v[128:129], v[169:170]
	v_fma_f64 v[70:71], v[134:135], v[128:129], -v[130:131]
	ds_store_b128 v255, v[64:67]
	ds_store_b128 v255, v[58:61] offset:1408
	ds_store_b128 v255, v[4:7] offset:2816
	;; [unrolled: 1-line block ×16, first 2 shown]
.LBB0_3:
	s_or_b32 exec_lo, exec_lo, s3
	s_load_b64 s[4:5], s[0:1], 0x20
	global_wb scope:SCOPE_SE
	s_wait_storecnt_dscnt 0x0
	s_wait_kmcnt 0x0
	s_barrier_signal -1
	s_barrier_wait -1
	global_inv scope:SCOPE_SE
                                        ; implicit-def: $vgpr24_vgpr25
                                        ; implicit-def: $vgpr44_vgpr45
                                        ; implicit-def: $vgpr52_vgpr53
                                        ; implicit-def: $vgpr64_vgpr65
                                        ; implicit-def: $vgpr72_vgpr73
                                        ; implicit-def: $vgpr80_vgpr81
                                        ; implicit-def: $vgpr84_vgpr85
                                        ; implicit-def: $vgpr88_vgpr89
                                        ; implicit-def: $vgpr76_vgpr77
                                        ; implicit-def: $vgpr40_vgpr41
                                        ; implicit-def: $vgpr36_vgpr37
                                        ; implicit-def: $vgpr32_vgpr33
                                        ; implicit-def: $vgpr28_vgpr29
                                        ; implicit-def: $vgpr68_vgpr69
                                        ; implicit-def: $vgpr60_vgpr61
                                        ; implicit-def: $vgpr56_vgpr57
                                        ; implicit-def: $vgpr48_vgpr49
	s_and_saveexec_b32 s2, vcc_lo
	s_cbranch_execz .LBB0_5
; %bb.4:
	ds_load_b128 v[24:27], v255
	ds_load_b128 v[48:51], v255 offset:1408
	ds_load_b128 v[44:47], v255 offset:2816
	ds_load_b128 v[56:59], v255 offset:4224
	ds_load_b128 v[60:63], v255 offset:5632
	ds_load_b128 v[52:55], v255 offset:7040
	ds_load_b128 v[68:71], v255 offset:8448
	ds_load_b128 v[64:67], v255 offset:9856
	ds_load_b128 v[72:75], v255 offset:11264
	ds_load_b128 v[80:83], v255 offset:12672
	ds_load_b128 v[84:87], v255 offset:14080
	ds_load_b128 v[88:91], v255 offset:15488
	ds_load_b128 v[76:79], v255 offset:16896
	ds_load_b128 v[40:43], v255 offset:18304
	ds_load_b128 v[36:39], v255 offset:19712
	ds_load_b128 v[32:35], v255 offset:21120
	ds_load_b128 v[28:31], v255 offset:22528
.LBB0_5:
	s_wait_alu 0xfffe
	s_or_b32 exec_lo, exec_lo, s2
	s_wait_dscnt 0x0
	v_add_f64_e64 v[2:3], v[50:51], -v[30:31]
	s_mov_b32 s40, 0x5d8e7cdc
	s_mov_b32 s41, 0xbfd71e95
	v_add_f64_e32 v[108:109], v[28:29], v[48:49]
	v_add_f64_e64 v[0:1], v[48:49], -v[28:29]
	v_add_f64_e64 v[114:115], v[46:47], -v[34:35]
	s_load_b64 s[2:3], s[0:1], 0x8
	s_mov_b32 s0, 0x370991
	s_mov_b32 s46, 0x2a9d6da3
	;; [unrolled: 1-line block ×4, first 2 shown]
	v_add_f64_e32 v[110:111], v[30:31], v[50:51]
	v_add_f64_e32 v[104:105], v[44:45], v[32:33]
	v_add_f64_e64 v[112:113], v[44:45], -v[32:33]
	s_mov_b32 s6, 0x75d4884
	s_mov_b32 s7, 0x3fe7a5f6
	v_add_f64_e32 v[106:107], v[46:47], v[34:35]
	s_mov_b32 s44, 0xeb564b22
	s_mov_b32 s30, 0x4363dd80
	;; [unrolled: 1-line block ×21, first 2 shown]
	v_mul_f64_e32 v[4:5], s[40:41], v[2:3]
	v_mul_f64_e32 v[8:9], s[46:47], v[2:3]
	;; [unrolled: 1-line block ×12, first 2 shown]
	s_mov_b32 s17, 0xbfd183b1
	v_mul_f64_e32 v[118:119], s[46:47], v[112:113]
	s_mov_b32 s51, 0x3fe0d888
	s_mov_b32 s50, s30
	v_mul_f64_e32 v[22:23], s[24:25], v[0:1]
	s_mov_b32 s20, 0x910ea3b9
	;; [unrolled: 3-line block ×5, first 2 shown]
	s_mov_b32 s42, s40
	v_mul_f64_e32 v[0:1], s[34:35], v[0:1]
	v_add_f64_e32 v[144:145], v[36:37], v[56:57]
	v_add_f64_e32 v[148:149], v[38:39], v[58:59]
	s_mov_b32 s39, 0x3fc7851a
	s_mov_b32 s38, s34
	v_add_f64_e32 v[177:178], v[40:41], v[60:61]
	v_add_f64_e32 v[181:182], v[42:43], v[62:63]
	s_mov_b32 s53, 0x3fe9895b
	s_mov_b32 s52, s26
	v_add_f64_e64 v[120:121], v[54:55], -v[78:79]
	scratch_store_b64 off, v[4:5], off offset:12 ; 8-byte Folded Spill
	s_wait_alu 0xfffe
	v_fma_f64 v[4:5], v[108:109], s[0:1], v[4:5]
	scratch_store_b64 off, v[8:9], off offset:28 ; 8-byte Folded Spill
	v_fma_f64 v[8:9], v[108:109], s[6:7], v[8:9]
	scratch_store_b64 off, v[6:7], off offset:20 ; 8-byte Folded Spill
	v_fma_f64 v[6:7], v[110:111], s[0:1], -v[6:7]
	scratch_store_b64 off, v[116:117], off offset:108 ; 8-byte Folded Spill
	v_fma_f64 v[116:117], v[104:105], s[6:7], v[116:117]
	scratch_store_b64 off, v[10:11], off offset:36 ; 8-byte Folded Spill
	v_fma_f64 v[10:11], v[110:111], s[6:7], -v[10:11]
	s_clause 0x6
	scratch_store_b64 off, v[96:97], off offset:124
	scratch_store_b64 off, v[98:99], off offset:132
	;; [unrolled: 1-line block ×7, first 2 shown]
	v_fma_f64 v[12:13], v[108:109], s[8:9], v[12:13]
	v_fma_f64 v[14:15], v[110:111], s[8:9], -v[14:15]
	v_fma_f64 v[16:17], v[108:109], s[10:11], v[16:17]
	v_fma_f64 v[18:19], v[110:111], s[10:11], -v[18:19]
	s_clause 0x3
	scratch_store_b64 off, v[20:21], off offset:76
	scratch_store_b64 off, v[22:23], off offset:84
	;; [unrolled: 1-line block ×4, first 2 shown]
	v_fma_f64 v[20:21], v[108:109], s[16:17], v[20:21]
	v_fma_f64 v[22:23], v[110:111], s[16:17], -v[22:23]
	v_fma_f64 v[92:93], v[108:109], s[18:19], v[92:93]
	v_fma_f64 v[94:95], v[110:111], s[18:19], -v[94:95]
	;; [unrolled: 2-line block ×3, first 2 shown]
	v_fma_f64 v[100:101], v[108:109], s[22:23], -v[2:3]
	v_fma_f64 v[2:3], v[108:109], s[22:23], v[2:3]
	v_fma_f64 v[102:103], v[110:111], s[22:23], v[0:1]
	v_fma_f64 v[0:1], v[110:111], s[22:23], -v[0:1]
	v_add_f64_e32 v[209:210], v[52:53], v[76:77]
	v_add_f64_e32 v[211:212], v[54:55], v[78:79]
	v_mul_f64_e32 v[249:250], s[36:37], v[120:121]
	v_mul_f64_e32 v[245:246], s[34:35], v[120:121]
	v_add_f64_e32 v[4:5], v[24:25], v[4:5]
	v_mul_f64_e32 v[130:131], s[40:41], v[120:121]
	v_add_f64_e32 v[8:9], v[24:25], v[8:9]
	v_add_f64_e64 v[128:129], v[70:71], -v[90:91]
	v_add_f64_e32 v[6:7], v[26:27], v[6:7]
	v_add_f64_e32 v[239:240], v[88:89], v[68:69]
	;; [unrolled: 1-line block ×3, first 2 shown]
	v_add_f64_e64 v[165:166], v[66:67], -v[86:87]
	v_add_f64_e32 v[10:11], v[26:27], v[10:11]
	v_add_f64_e64 v[163:164], v[64:65], -v[84:85]
	v_add_f64_e64 v[233:234], v[74:75], -v[82:83]
	;; [unrolled: 1-line block ×3, first 2 shown]
	v_add_f64_e32 v[12:13], v[24:25], v[12:13]
	v_add_f64_e32 v[14:15], v[26:27], v[14:15]
	;; [unrolled: 1-line block ×15, first 2 shown]
	v_fma_f64 v[116:117], v[106:107], s[6:7], -v[118:119]
	v_mul_f64_e32 v[118:119], s[44:45], v[112:113]
	v_mul_f64_e32 v[150:151], s[48:49], v[128:129]
	;; [unrolled: 1-line block ×23, first 2 shown]
	v_add_f64_e32 v[6:7], v[116:117], v[6:7]
	v_mul_f64_e32 v[116:117], s[44:45], v[114:115]
	s_clause 0x1
	scratch_store_b64 off, v[118:119], off offset:196
	scratch_store_b64 off, v[116:117], off offset:188
	v_fma_f64 v[116:117], v[104:105], s[10:11], v[116:117]
	s_delay_alu instid0(VALU_DEP_1) | instskip(SKIP_2) | instid1(VALU_DEP_2)
	v_add_f64_e32 v[8:9], v[116:117], v[8:9]
	v_fma_f64 v[116:117], v[106:107], s[10:11], -v[118:119]
	v_mul_f64_e32 v[118:119], s[26:27], v[112:113]
	v_add_f64_e32 v[10:11], v[116:117], v[10:11]
	v_mul_f64_e32 v[116:117], s[26:27], v[114:115]
	s_clause 0x1
	scratch_store_b64 off, v[118:119], off offset:180
	scratch_store_b64 off, v[116:117], off offset:172
	v_fma_f64 v[116:117], v[104:105], s[18:19], v[116:117]
	s_delay_alu instid0(VALU_DEP_1) | instskip(SKIP_2) | instid1(VALU_DEP_2)
	v_add_f64_e32 v[12:13], v[116:117], v[12:13]
	v_fma_f64 v[116:117], v[106:107], s[18:19], -v[118:119]
	v_mul_f64_e32 v[118:119], s[34:35], v[112:113]
	;; [unrolled: 10-line block ×3, first 2 shown]
	v_add_f64_e32 v[18:19], v[116:117], v[18:19]
	v_mul_f64_e32 v[116:117], s[50:51], v[114:115]
	scratch_store_b64 off, v[116:117], off offset:140 ; 8-byte Folded Spill
	v_fma_f64 v[116:117], v[104:105], s[20:21], v[116:117]
	s_delay_alu instid0(VALU_DEP_1) | instskip(SKIP_1) | instid1(VALU_DEP_1)
	v_add_f64_e32 v[20:21], v[116:117], v[20:21]
	v_fma_f64 v[116:117], v[106:107], s[20:21], -v[118:119]
	v_add_f64_e32 v[22:23], v[116:117], v[22:23]
	v_mul_f64_e32 v[116:117], s[48:49], v[114:115]
	scratch_store_b64 off, v[118:119], off offset:148 ; 8-byte Folded Spill
	v_mul_f64_e32 v[118:119], s[48:49], v[112:113]
	scratch_store_b64 off, v[116:117], off offset:204 ; 8-byte Folded Spill
	v_fma_f64 v[116:117], v[104:105], s[16:17], v[116:117]
	scratch_store_b64 off, v[118:119], off offset:212 ; 8-byte Folded Spill
	v_add_f64_e32 v[92:93], v[116:117], v[92:93]
	v_fma_f64 v[116:117], v[106:107], s[16:17], -v[118:119]
	v_mul_f64_e32 v[118:119], s[28:29], v[112:113]
	v_mul_f64_e32 v[112:113], s[42:43], v[112:113]
	s_delay_alu instid0(VALU_DEP_3)
	v_add_f64_e32 v[94:95], v[116:117], v[94:95]
	v_mul_f64_e32 v[116:117], s[28:29], v[114:115]
	v_mul_f64_e32 v[114:115], s[42:43], v[114:115]
	s_clause 0x1
	scratch_store_b64 off, v[118:119], off offset:244
	scratch_store_b64 off, v[116:117], off offset:236
	v_fma_f64 v[116:117], v[104:105], s[8:9], v[116:117]
	s_delay_alu instid0(VALU_DEP_1) | instskip(SKIP_1) | instid1(VALU_DEP_1)
	v_add_f64_e32 v[96:97], v[116:117], v[96:97]
	v_fma_f64 v[116:117], v[106:107], s[8:9], -v[118:119]
	v_add_f64_e32 v[98:99], v[116:117], v[98:99]
	v_fma_f64 v[116:117], v[104:105], s[0:1], -v[114:115]
	v_fma_f64 v[114:115], v[104:105], s[0:1], v[114:115]
	s_delay_alu instid0(VALU_DEP_2) | instskip(SKIP_1) | instid1(VALU_DEP_3)
	v_add_f64_e32 v[100:101], v[116:117], v[100:101]
	v_fma_f64 v[116:117], v[106:107], s[0:1], v[112:113]
	v_add_f64_e32 v[2:3], v[114:115], v[2:3]
	v_fma_f64 v[112:113], v[106:107], s[0:1], -v[112:113]
	v_add_f64_e64 v[114:115], v[58:59], -v[38:39]
	s_delay_alu instid0(VALU_DEP_4) | instskip(NEXT) | instid1(VALU_DEP_3)
	v_add_f64_e32 v[102:103], v[116:117], v[102:103]
	v_add_f64_e32 v[0:1], v[112:113], v[0:1]
	v_add_f64_e64 v[112:113], v[56:57], -v[36:37]
	s_delay_alu instid0(VALU_DEP_4) | instskip(NEXT) | instid1(VALU_DEP_2)
	v_mul_f64_e32 v[116:117], s[36:37], v[114:115]
	v_mul_f64_e32 v[118:119], s[36:37], v[112:113]
	scratch_store_b64 off, v[116:117], off offset:220 ; 8-byte Folded Spill
	v_fma_f64 v[116:117], v[144:145], s[8:9], v[116:117]
	s_delay_alu instid0(VALU_DEP_1) | instskip(SKIP_1) | instid1(VALU_DEP_1)
	v_add_f64_e32 v[4:5], v[116:117], v[4:5]
	v_fma_f64 v[116:117], v[148:149], s[8:9], -v[118:119]
	v_add_f64_e32 v[6:7], v[116:117], v[6:7]
	v_mul_f64_e32 v[116:117], s[26:27], v[114:115]
	scratch_store_b64 off, v[118:119], off offset:228 ; 8-byte Folded Spill
	v_mul_f64_e32 v[118:119], s[26:27], v[112:113]
	scratch_store_b64 off, v[116:117], off offset:300 ; 8-byte Folded Spill
	v_fma_f64 v[116:117], v[144:145], s[18:19], v[116:117]
	scratch_store_b64 off, v[118:119], off offset:308 ; 8-byte Folded Spill
	v_add_f64_e32 v[8:9], v[116:117], v[8:9]
	v_fma_f64 v[116:117], v[148:149], s[18:19], -v[118:119]
	v_mul_f64_e32 v[118:119], s[38:39], v[112:113]
	s_delay_alu instid0(VALU_DEP_2)
	v_add_f64_e32 v[10:11], v[116:117], v[10:11]
	v_mul_f64_e32 v[116:117], s[38:39], v[114:115]
	s_mov_b32 s39, 0x3fe58eea
	s_mov_b32 s38, s46
	scratch_store_b64 off, v[118:119], off offset:292 ; 8-byte Folded Spill
	s_wait_alu 0xfffe
	v_mul_f64_e32 v[253:254], s[38:39], v[120:121]
	v_mul_f64_e32 v[199:200], s[38:39], v[165:166]
	;; [unrolled: 1-line block ×5, first 2 shown]
	scratch_store_b64 off, v[116:117], off offset:284 ; 8-byte Folded Spill
	v_fma_f64 v[116:117], v[144:145], s[22:23], v[116:117]
	v_fma_f64 v[122:123], v[209:210], s[6:7], v[253:254]
	s_delay_alu instid0(VALU_DEP_2) | instskip(SKIP_2) | instid1(VALU_DEP_2)
	v_add_f64_e32 v[12:13], v[116:117], v[12:13]
	v_fma_f64 v[116:117], v[148:149], s[22:23], -v[118:119]
	v_mul_f64_e32 v[118:119], s[48:49], v[112:113]
	v_add_f64_e32 v[14:15], v[116:117], v[14:15]
	v_mul_f64_e32 v[116:117], s[48:49], v[114:115]
	s_clause 0x1
	scratch_store_b64 off, v[118:119], off offset:276
	scratch_store_b64 off, v[116:117], off offset:268
	v_fma_f64 v[116:117], v[144:145], s[16:17], v[116:117]
	s_delay_alu instid0(VALU_DEP_1) | instskip(SKIP_2) | instid1(VALU_DEP_2)
	v_add_f64_e32 v[16:17], v[116:117], v[16:17]
	v_fma_f64 v[116:117], v[148:149], s[16:17], -v[118:119]
	v_mul_f64_e32 v[118:119], s[38:39], v[112:113]
	v_add_f64_e32 v[18:19], v[116:117], v[18:19]
	v_mul_f64_e32 v[116:117], s[38:39], v[114:115]
	scratch_store_b64 off, v[116:117], off offset:252 ; 8-byte Folded Spill
	v_fma_f64 v[116:117], v[144:145], s[6:7], v[116:117]
	s_delay_alu instid0(VALU_DEP_1) | instskip(SKIP_1) | instid1(VALU_DEP_1)
	v_add_f64_e32 v[20:21], v[116:117], v[20:21]
	v_fma_f64 v[116:117], v[148:149], s[6:7], -v[118:119]
	v_add_f64_e32 v[22:23], v[116:117], v[22:23]
	v_mul_f64_e32 v[116:117], s[40:41], v[114:115]
	scratch_store_b64 off, v[118:119], off offset:260 ; 8-byte Folded Spill
	v_mul_f64_e32 v[118:119], s[40:41], v[112:113]
	scratch_store_b64 off, v[116:117], off offset:324 ; 8-byte Folded Spill
	v_fma_f64 v[116:117], v[144:145], s[0:1], v[116:117]
	scratch_store_b64 off, v[118:119], off offset:332 ; 8-byte Folded Spill
	v_add_f64_e32 v[92:93], v[116:117], v[92:93]
	v_fma_f64 v[116:117], v[148:149], s[0:1], -v[118:119]
	v_mul_f64_e32 v[118:119], s[44:45], v[112:113]
	v_mul_f64_e32 v[112:113], s[30:31], v[112:113]
	s_delay_alu instid0(VALU_DEP_3)
	v_add_f64_e32 v[94:95], v[116:117], v[94:95]
	v_mul_f64_e32 v[116:117], s[44:45], v[114:115]
	v_mul_f64_e32 v[114:115], s[30:31], v[114:115]
	s_clause 0x1
	scratch_store_b64 off, v[118:119], off offset:356
	scratch_store_b64 off, v[116:117], off offset:348
	v_fma_f64 v[116:117], v[144:145], s[10:11], v[116:117]
	s_delay_alu instid0(VALU_DEP_1) | instskip(SKIP_1) | instid1(VALU_DEP_1)
	v_add_f64_e32 v[96:97], v[116:117], v[96:97]
	v_fma_f64 v[116:117], v[148:149], s[10:11], -v[118:119]
	v_add_f64_e32 v[98:99], v[116:117], v[98:99]
	v_fma_f64 v[116:117], v[144:145], s[20:21], -v[114:115]
	v_fma_f64 v[114:115], v[144:145], s[20:21], v[114:115]
	s_delay_alu instid0(VALU_DEP_2) | instskip(SKIP_1) | instid1(VALU_DEP_3)
	v_add_f64_e32 v[100:101], v[116:117], v[100:101]
	v_fma_f64 v[116:117], v[148:149], s[20:21], v[112:113]
	v_add_f64_e32 v[2:3], v[114:115], v[2:3]
	v_fma_f64 v[112:113], v[148:149], s[20:21], -v[112:113]
	v_add_f64_e64 v[114:115], v[62:63], -v[42:43]
	s_delay_alu instid0(VALU_DEP_4) | instskip(NEXT) | instid1(VALU_DEP_3)
	v_add_f64_e32 v[102:103], v[116:117], v[102:103]
	v_add_f64_e32 v[0:1], v[112:113], v[0:1]
	v_add_f64_e64 v[112:113], v[60:61], -v[40:41]
	s_delay_alu instid0(VALU_DEP_4) | instskip(SKIP_1) | instid1(VALU_DEP_3)
	v_mul_f64_e32 v[116:117], s[44:45], v[114:115]
	v_mul_f64_e32 v[237:238], s[52:53], v[114:115]
	;; [unrolled: 1-line block ×3, first 2 shown]
	scratch_store_b64 off, v[116:117], off offset:316 ; 8-byte Folded Spill
	v_fma_f64 v[116:117], v[177:178], s[10:11], v[116:117]
	v_mul_f64_e32 v[243:244], s[52:53], v[112:113]
	s_delay_alu instid0(VALU_DEP_2) | instskip(SKIP_1) | instid1(VALU_DEP_1)
	v_add_f64_e32 v[4:5], v[116:117], v[4:5]
	v_fma_f64 v[116:117], v[181:182], s[10:11], -v[118:119]
	v_add_f64_e32 v[6:7], v[116:117], v[6:7]
	v_mul_f64_e32 v[116:117], s[34:35], v[114:115]
	scratch_store_b64 off, v[118:119], off offset:340 ; 8-byte Folded Spill
	v_mul_f64_e32 v[118:119], s[34:35], v[112:113]
	scratch_store_b64 off, v[116:117], off offset:412 ; 8-byte Folded Spill
	v_fma_f64 v[116:117], v[177:178], s[22:23], v[116:117]
	scratch_store_b64 off, v[118:119], off offset:420 ; 8-byte Folded Spill
	v_add_f64_e32 v[8:9], v[116:117], v[8:9]
	v_fma_f64 v[116:117], v[181:182], s[22:23], -v[118:119]
	v_mul_f64_e32 v[118:119], s[48:49], v[112:113]
	s_delay_alu instid0(VALU_DEP_2)
	v_add_f64_e32 v[10:11], v[116:117], v[10:11]
	v_mul_f64_e32 v[116:117], s[48:49], v[114:115]
	s_clause 0x1
	scratch_store_b64 off, v[118:119], off offset:404
	scratch_store_b64 off, v[116:117], off offset:396
	v_fma_f64 v[116:117], v[177:178], s[16:17], v[116:117]
	s_delay_alu instid0(VALU_DEP_1) | instskip(SKIP_2) | instid1(VALU_DEP_3)
	v_add_f64_e32 v[12:13], v[116:117], v[12:13]
	v_fma_f64 v[116:117], v[181:182], s[16:17], -v[118:119]
	v_mul_f64_e32 v[118:119], s[42:43], v[112:113]
	v_add_f64_e32 v[12:13], v[122:123], v[12:13]
	s_delay_alu instid0(VALU_DEP_3)
	v_add_f64_e32 v[14:15], v[116:117], v[14:15]
	v_mul_f64_e32 v[116:117], s[42:43], v[114:115]
	s_clause 0x1
	scratch_store_b64 off, v[118:119], off offset:388
	scratch_store_b64 off, v[116:117], off offset:380
	v_fma_f64 v[116:117], v[177:178], s[0:1], v[116:117]
	s_delay_alu instid0(VALU_DEP_1) | instskip(SKIP_2) | instid1(VALU_DEP_2)
	v_add_f64_e32 v[16:17], v[116:117], v[16:17]
	v_fma_f64 v[116:117], v[181:182], s[0:1], -v[118:119]
	v_mul_f64_e32 v[118:119], s[36:37], v[112:113]
	v_add_f64_e32 v[18:19], v[116:117], v[18:19]
	v_mul_f64_e32 v[116:117], s[36:37], v[114:115]
	scratch_store_b64 off, v[116:117], off offset:364 ; 8-byte Folded Spill
	v_fma_f64 v[116:117], v[177:178], s[8:9], v[116:117]
	s_delay_alu instid0(VALU_DEP_1) | instskip(SKIP_1) | instid1(VALU_DEP_1)
	v_add_f64_e32 v[20:21], v[116:117], v[20:21]
	v_fma_f64 v[116:117], v[181:182], s[8:9], -v[118:119]
	v_add_f64_e32 v[22:23], v[116:117], v[22:23]
	v_mul_f64_e32 v[116:117], s[30:31], v[114:115]
	scratch_store_b64 off, v[118:119], off offset:372 ; 8-byte Folded Spill
	v_mul_f64_e32 v[118:119], s[30:31], v[112:113]
	v_mul_f64_e32 v[114:115], s[38:39], v[114:115]
	;; [unrolled: 1-line block ×3, first 2 shown]
	scratch_store_b64 off, v[116:117], off offset:444 ; 8-byte Folded Spill
	v_fma_f64 v[116:117], v[177:178], s[20:21], v[116:117]
	scratch_store_b64 off, v[118:119], off offset:452 ; 8-byte Folded Spill
	v_add_f64_e32 v[92:93], v[116:117], v[92:93]
	v_fma_f64 v[116:117], v[181:182], s[20:21], -v[118:119]
	v_add_f64_e64 v[118:119], v[52:53], -v[76:77]
	s_delay_alu instid0(VALU_DEP_2) | instskip(SKIP_1) | instid1(VALU_DEP_3)
	v_add_f64_e32 v[94:95], v[116:117], v[94:95]
	v_fma_f64 v[116:117], v[177:178], s[18:19], v[237:238]
	v_mul_f64_e32 v[251:252], s[36:37], v[118:119]
	v_mul_f64_e32 v[247:248], s[34:35], v[118:119]
	s_mov_b32 s37, 0x3fefdd0d
	s_mov_b32 s36, s44
	v_mul_f64_e32 v[134:135], s[40:41], v[118:119]
	s_wait_alu 0xfffe
	v_mul_f64_e32 v[124:125], s[36:37], v[118:119]
	v_add_f64_e32 v[96:97], v[116:117], v[96:97]
	v_fma_f64 v[116:117], v[181:182], s[18:19], -v[243:244]
	s_delay_alu instid0(VALU_DEP_1) | instskip(SKIP_2) | instid1(VALU_DEP_2)
	v_add_f64_e32 v[98:99], v[116:117], v[98:99]
	v_fma_f64 v[116:117], v[177:178], s[6:7], -v[114:115]
	v_fma_f64 v[114:115], v[177:178], s[6:7], v[114:115]
	v_add_f64_e32 v[100:101], v[116:117], v[100:101]
	v_fma_f64 v[116:117], v[181:182], s[6:7], v[112:113]
	v_fma_f64 v[112:113], v[181:182], s[6:7], -v[112:113]
	s_delay_alu instid0(VALU_DEP_4) | instskip(SKIP_1) | instid1(VALU_DEP_4)
	v_add_f64_e32 v[2:3], v[114:115], v[2:3]
	v_mul_f64_e32 v[114:115], s[24:25], v[118:119]
	v_add_f64_e32 v[102:103], v[116:117], v[102:103]
	s_delay_alu instid0(VALU_DEP_4)
	v_add_f64_e32 v[0:1], v[112:113], v[0:1]
	v_mul_f64_e32 v[112:113], s[24:25], v[120:121]
	scratch_store_b64 off, v[114:115], off offset:436 ; 8-byte Folded Spill
	v_mul_f64_e32 v[116:117], s[50:51], v[118:119]
	scratch_store_b64 off, v[112:113], off offset:428 ; 8-byte Folded Spill
	v_fma_f64 v[112:113], v[209:210], s[16:17], v[112:113]
	global_wb scope:SCOPE_SE
	s_wait_storecnt 0x0
	s_wait_kmcnt 0x0
	s_barrier_signal -1
	s_barrier_wait -1
	global_inv scope:SCOPE_SE
	v_add_f64_e32 v[4:5], v[112:113], v[4:5]
	v_fma_f64 v[112:113], v[211:212], s[16:17], -v[114:115]
	v_mul_f64_e32 v[114:115], s[50:51], v[120:121]
	s_delay_alu instid0(VALU_DEP_2) | instskip(NEXT) | instid1(VALU_DEP_2)
	v_add_f64_e32 v[6:7], v[112:113], v[6:7]
	v_fma_f64 v[112:113], v[209:210], s[20:21], v[114:115]
	s_delay_alu instid0(VALU_DEP_1) | instskip(SKIP_1) | instid1(VALU_DEP_1)
	v_add_f64_e32 v[8:9], v[112:113], v[8:9]
	v_fma_f64 v[112:113], v[211:212], s[20:21], -v[116:117]
	v_add_f64_e32 v[10:11], v[112:113], v[10:11]
	v_mul_f64_e32 v[112:113], s[38:39], v[118:119]
	v_mul_f64_e32 v[118:119], s[26:27], v[118:119]
	s_delay_alu instid0(VALU_DEP_2) | instskip(NEXT) | instid1(VALU_DEP_1)
	v_fma_f64 v[122:123], v[211:212], s[6:7], -v[112:113]
	v_add_f64_e32 v[14:15], v[122:123], v[14:15]
	v_fma_f64 v[122:123], v[209:210], s[8:9], v[249:250]
	s_delay_alu instid0(VALU_DEP_1) | instskip(SKIP_1) | instid1(VALU_DEP_1)
	v_add_f64_e32 v[16:17], v[122:123], v[16:17]
	v_fma_f64 v[122:123], v[211:212], s[8:9], -v[251:252]
	v_add_f64_e32 v[18:19], v[122:123], v[18:19]
	v_fma_f64 v[122:123], v[209:210], s[22:23], v[245:246]
	s_delay_alu instid0(VALU_DEP_1) | instskip(SKIP_1) | instid1(VALU_DEP_1)
	v_add_f64_e32 v[20:21], v[122:123], v[20:21]
	v_fma_f64 v[122:123], v[211:212], s[22:23], -v[247:248]
	v_add_f64_e32 v[22:23], v[122:123], v[22:23]
	v_mul_f64_e32 v[122:123], s[36:37], v[120:121]
	v_mul_f64_e32 v[120:121], s[26:27], v[120:121]
	s_delay_alu instid0(VALU_DEP_2) | instskip(NEXT) | instid1(VALU_DEP_1)
	v_fma_f64 v[126:127], v[209:210], s[10:11], v[122:123]
	v_add_f64_e32 v[92:93], v[126:127], v[92:93]
	v_fma_f64 v[126:127], v[211:212], s[10:11], -v[124:125]
	s_delay_alu instid0(VALU_DEP_1) | instskip(SKIP_1) | instid1(VALU_DEP_1)
	v_add_f64_e32 v[94:95], v[126:127], v[94:95]
	v_fma_f64 v[126:127], v[209:210], s[0:1], v[130:131]
	v_add_f64_e32 v[96:97], v[126:127], v[96:97]
	v_fma_f64 v[126:127], v[211:212], s[0:1], -v[134:135]
	s_delay_alu instid0(VALU_DEP_1) | instskip(SKIP_2) | instid1(VALU_DEP_2)
	v_add_f64_e32 v[98:99], v[126:127], v[98:99]
	v_fma_f64 v[126:127], v[209:210], s[18:19], -v[120:121]
	v_fma_f64 v[120:121], v[209:210], s[18:19], v[120:121]
	v_add_f64_e32 v[100:101], v[126:127], v[100:101]
	v_fma_f64 v[126:127], v[211:212], s[18:19], v[118:119]
	v_fma_f64 v[118:119], v[211:212], s[18:19], -v[118:119]
	s_delay_alu instid0(VALU_DEP_4) | instskip(NEXT) | instid1(VALU_DEP_3)
	v_add_f64_e32 v[2:3], v[120:121], v[2:3]
	v_add_f64_e32 v[102:103], v[126:127], v[102:103]
	s_delay_alu instid0(VALU_DEP_3) | instskip(SKIP_2) | instid1(VALU_DEP_2)
	v_add_f64_e32 v[0:1], v[118:119], v[0:1]
	v_add_f64_e64 v[126:127], v[68:69], -v[88:89]
	v_mul_f64_e32 v[118:119], s[26:27], v[128:129]
	v_mul_f64_e32 v[120:121], s[26:27], v[126:127]
	s_delay_alu instid0(VALU_DEP_2)
	v_fma_f64 v[132:133], v[239:240], s[18:19], v[118:119]
	v_mul_f64_e32 v[152:153], s[48:49], v[126:127]
	v_mul_f64_e32 v[146:147], s[40:41], v[126:127]
	;; [unrolled: 1-line block ×7, first 2 shown]
	v_add_f64_e32 v[4:5], v[132:133], v[4:5]
	v_fma_f64 v[132:133], v[241:242], s[18:19], -v[120:121]
	s_delay_alu instid0(VALU_DEP_1) | instskip(SKIP_1) | instid1(VALU_DEP_1)
	v_add_f64_e32 v[6:7], v[132:133], v[6:7]
	v_fma_f64 v[132:133], v[239:240], s[16:17], v[150:151]
	v_add_f64_e32 v[8:9], v[132:133], v[8:9]
	v_fma_f64 v[132:133], v[241:242], s[16:17], -v[152:153]
	s_delay_alu instid0(VALU_DEP_1) | instskip(SKIP_1) | instid1(VALU_DEP_1)
	v_add_f64_e32 v[10:11], v[132:133], v[10:11]
	v_fma_f64 v[132:133], v[239:240], s[0:1], v[142:143]
	;; [unrolled: 5-line block ×3, first 2 shown]
	v_add_f64_e32 v[16:17], v[132:133], v[16:17]
	v_fma_f64 v[132:133], v[241:242], s[20:21], -v[140:141]
	s_delay_alu instid0(VALU_DEP_1) | instskip(SKIP_2) | instid1(VALU_DEP_2)
	v_add_f64_e32 v[18:19], v[132:133], v[18:19]
	v_mul_f64_e32 v[132:133], s[36:37], v[128:129]
	v_mul_f64_e32 v[128:129], s[28:29], v[128:129]
	v_fma_f64 v[154:155], v[239:240], s[10:11], v[132:133]
	s_delay_alu instid0(VALU_DEP_1) | instskip(SKIP_1) | instid1(VALU_DEP_1)
	v_add_f64_e32 v[20:21], v[154:155], v[20:21]
	v_fma_f64 v[154:155], v[241:242], s[10:11], -v[136:137]
	v_add_f64_e32 v[22:23], v[154:155], v[22:23]
	v_fma_f64 v[154:155], v[239:240], s[6:7], v[159:160]
	s_delay_alu instid0(VALU_DEP_1) | instskip(SKIP_1) | instid1(VALU_DEP_1)
	v_add_f64_e32 v[92:93], v[154:155], v[92:93]
	v_fma_f64 v[154:155], v[241:242], s[6:7], -v[161:162]
	v_add_f64_e32 v[94:95], v[154:155], v[94:95]
	;; [unrolled: 5-line block ×3, first 2 shown]
	v_fma_f64 v[154:155], v[239:240], s[8:9], -v[128:129]
	v_fma_f64 v[128:129], v[239:240], s[8:9], v[128:129]
	s_delay_alu instid0(VALU_DEP_2) | instskip(SKIP_2) | instid1(VALU_DEP_4)
	v_add_f64_e32 v[100:101], v[154:155], v[100:101]
	v_fma_f64 v[154:155], v[241:242], s[8:9], v[126:127]
	v_fma_f64 v[126:127], v[241:242], s[8:9], -v[126:127]
	v_add_f64_e32 v[2:3], v[128:129], v[2:3]
	v_add_f64_e32 v[128:129], v[66:67], v[86:87]
	s_delay_alu instid0(VALU_DEP_4) | instskip(NEXT) | instid1(VALU_DEP_4)
	v_add_f64_e32 v[102:103], v[154:155], v[102:103]
	v_add_f64_e32 v[0:1], v[126:127], v[0:1]
	;; [unrolled: 1-line block ×3, first 2 shown]
	v_mul_f64_e32 v[154:155], s[30:31], v[165:166]
	s_delay_alu instid0(VALU_DEP_1) | instskip(NEXT) | instid1(VALU_DEP_1)
	v_fma_f64 v[167:168], v[126:127], s[20:21], v[154:155]
	v_add_f64_e32 v[4:5], v[167:168], v[4:5]
	v_fma_f64 v[167:168], v[128:129], s[20:21], -v[157:158]
	s_delay_alu instid0(VALU_DEP_1) | instskip(SKIP_1) | instid1(VALU_DEP_1)
	v_add_f64_e32 v[6:7], v[167:168], v[6:7]
	v_fma_f64 v[167:168], v[126:127], s[8:9], v[187:188]
	v_add_f64_e32 v[207:208], v[167:168], v[8:9]
	v_fma_f64 v[8:9], v[128:129], s[8:9], -v[189:190]
	v_mul_f64_e32 v[167:168], s[40:41], v[165:166]
	v_mul_f64_e32 v[165:166], s[24:25], v[165:166]
	s_delay_alu instid0(VALU_DEP_3) | instskip(SKIP_2) | instid1(VALU_DEP_2)
	v_add_f64_e32 v[213:214], v[8:9], v[10:11]
	v_fma_f64 v[8:9], v[126:127], s[10:11], v[183:184]
	v_fma_f64 v[10:11], v[128:129], s[10:11], -v[185:186]
	v_add_f64_e32 v[8:9], v[8:9], v[12:13]
	v_fma_f64 v[12:13], v[126:127], s[18:19], v[175:176]
	s_delay_alu instid0(VALU_DEP_3) | instskip(SKIP_1) | instid1(VALU_DEP_3)
	v_add_f64_e32 v[10:11], v[10:11], v[14:15]
	v_fma_f64 v[14:15], v[128:129], s[18:19], -v[179:180]
	v_add_f64_e32 v[12:13], v[12:13], v[16:17]
	v_fma_f64 v[16:17], v[126:127], s[0:1], v[167:168]
	s_delay_alu instid0(VALU_DEP_3) | instskip(SKIP_1) | instid1(VALU_DEP_3)
	v_add_f64_e32 v[14:15], v[14:15], v[18:19]
	;; [unrolled: 5-line block ×4, first 2 shown]
	v_fma_f64 v[94:95], v[128:129], s[6:7], -v[201:202]
	v_add_f64_e32 v[92:93], v[92:93], v[96:97]
	v_fma_f64 v[96:97], v[126:127], s[16:17], -v[165:166]
	s_delay_alu instid0(VALU_DEP_3) | instskip(SKIP_1) | instid1(VALU_DEP_3)
	v_add_f64_e32 v[94:95], v[94:95], v[98:99]
	v_fma_f64 v[98:99], v[128:129], s[16:17], v[163:164]
	v_add_f64_e32 v[96:97], v[96:97], v[100:101]
	v_fma_f64 v[100:101], v[126:127], s[16:17], v[165:166]
	s_delay_alu instid0(VALU_DEP_3) | instskip(SKIP_1) | instid1(VALU_DEP_3)
	v_add_f64_e32 v[98:99], v[98:99], v[102:103]
	v_add_f64_e32 v[165:166], v[74:75], v[82:83]
	;; [unrolled: 1-line block ×3, first 2 shown]
	v_fma_f64 v[2:3], v[128:129], s[16:17], -v[163:164]
	v_add_f64_e32 v[163:164], v[72:73], v[80:81]
	s_delay_alu instid0(VALU_DEP_2) | instskip(NEXT) | instid1(VALU_DEP_2)
	v_add_f64_e32 v[102:103], v[2:3], v[0:1]
	v_fma_f64 v[0:1], v[163:164], s[22:23], v[191:192]
	v_fma_f64 v[2:3], v[165:166], s[22:23], -v[193:194]
	s_delay_alu instid0(VALU_DEP_2) | instskip(SKIP_1) | instid1(VALU_DEP_3)
	v_add_f64_e32 v[0:1], v[0:1], v[4:5]
	v_fma_f64 v[4:5], v[163:164], s[0:1], v[203:204]
	v_add_f64_e32 v[2:3], v[2:3], v[6:7]
	v_fma_f64 v[6:7], v[165:166], s[0:1], -v[205:206]
	s_delay_alu instid0(VALU_DEP_3) | instskip(SKIP_1) | instid1(VALU_DEP_3)
	v_add_f64_e32 v[4:5], v[4:5], v[207:208]
	v_mul_f64_e32 v[207:208], s[30:31], v[233:234]
	v_add_f64_e32 v[6:7], v[6:7], v[213:214]
	v_mul_f64_e32 v[213:214], s[30:31], v[227:228]
	v_mul_f64_e32 v[227:228], s[36:37], v[227:228]
	s_delay_alu instid0(VALU_DEP_4) | instskip(NEXT) | instid1(VALU_DEP_1)
	v_fma_f64 v[215:216], v[163:164], s[20:21], v[207:208]
	v_add_f64_e32 v[8:9], v[215:216], v[8:9]
	s_delay_alu instid0(VALU_DEP_4) | instskip(NEXT) | instid1(VALU_DEP_1)
	v_fma_f64 v[215:216], v[165:166], s[20:21], -v[213:214]
	v_add_f64_e32 v[10:11], v[215:216], v[10:11]
	v_mul_f64_e32 v[215:216], s[38:39], v[233:234]
	s_delay_alu instid0(VALU_DEP_1) | instskip(NEXT) | instid1(VALU_DEP_1)
	v_fma_f64 v[219:220], v[163:164], s[6:7], v[215:216]
	v_add_f64_e32 v[12:13], v[219:220], v[12:13]
	v_fma_f64 v[219:220], v[165:166], s[6:7], -v[217:218]
	s_delay_alu instid0(VALU_DEP_1) | instskip(SKIP_1) | instid1(VALU_DEP_1)
	v_add_f64_e32 v[14:15], v[219:220], v[14:15]
	v_mul_f64_e32 v[219:220], s[26:27], v[233:234]
	v_fma_f64 v[223:224], v[163:164], s[18:19], v[219:220]
	s_delay_alu instid0(VALU_DEP_1) | instskip(SKIP_1) | instid1(VALU_DEP_1)
	v_add_f64_e32 v[16:17], v[223:224], v[16:17]
	v_fma_f64 v[223:224], v[165:166], s[18:19], -v[221:222]
	v_add_f64_e32 v[18:19], v[223:224], v[18:19]
	v_mul_f64_e32 v[223:224], s[28:29], v[233:234]
	s_delay_alu instid0(VALU_DEP_1) | instskip(NEXT) | instid1(VALU_DEP_1)
	v_fma_f64 v[229:230], v[163:164], s[8:9], v[223:224]
	v_add_f64_e32 v[20:21], v[229:230], v[20:21]
	v_fma_f64 v[229:230], v[165:166], s[8:9], -v[225:226]
	s_delay_alu instid0(VALU_DEP_1) | instskip(SKIP_2) | instid1(VALU_DEP_2)
	v_add_f64_e32 v[22:23], v[229:230], v[22:23]
	v_mul_f64_e32 v[229:230], s[24:25], v[233:234]
	v_mul_f64_e32 v[233:234], s[36:37], v[233:234]
	v_fma_f64 v[235:236], v[163:164], s[16:17], v[229:230]
	s_delay_alu instid0(VALU_DEP_1) | instskip(SKIP_1) | instid1(VALU_DEP_1)
	v_add_f64_e32 v[92:93], v[235:236], v[92:93]
	v_fma_f64 v[235:236], v[165:166], s[16:17], -v[231:232]
	v_add_f64_e32 v[94:95], v[235:236], v[94:95]
	v_fma_f64 v[235:236], v[163:164], s[10:11], -v[233:234]
	v_fma_f64 v[233:234], v[163:164], s[10:11], v[233:234]
	s_delay_alu instid0(VALU_DEP_2) | instskip(SKIP_2) | instid1(VALU_DEP_4)
	v_add_f64_e32 v[96:97], v[235:236], v[96:97]
	v_fma_f64 v[235:236], v[165:166], s[10:11], v[227:228]
	v_fma_f64 v[227:228], v[165:166], s[10:11], -v[227:228]
	v_add_f64_e32 v[100:101], v[233:234], v[100:101]
	s_delay_alu instid0(VALU_DEP_3) | instskip(NEXT) | instid1(VALU_DEP_3)
	v_add_f64_e32 v[98:99], v[235:236], v[98:99]
	v_add_f64_e32 v[102:103], v[227:228], v[102:103]
	s_and_saveexec_b32 s24, vcc_lo
	s_cbranch_execz .LBB0_7
; %bb.6:
	v_add_f64_e32 v[50:51], v[26:27], v[50:51]
	v_add_f64_e32 v[48:49], v[24:25], v[48:49]
	s_delay_alu instid0(VALU_DEP_2) | instskip(NEXT) | instid1(VALU_DEP_2)
	v_add_f64_e32 v[46:47], v[46:47], v[50:51]
	v_add_f64_e32 v[44:45], v[44:45], v[48:49]
	s_clause 0x1
	scratch_load_b64 v[48:49], off, off offset:60 th:TH_LOAD_LU
	scratch_load_b64 v[50:51], off, off offset:52 th:TH_LOAD_LU
	v_add_f64_e32 v[46:47], v[58:59], v[46:47]
	v_add_f64_e32 v[44:45], v[56:57], v[44:45]
	s_clause 0x1
	scratch_load_b64 v[56:57], off, off offset:28 th:TH_LOAD_LU
	scratch_load_b64 v[58:59], off, off offset:20 th:TH_LOAD_LU
	v_add_f64_e32 v[46:47], v[62:63], v[46:47]
	v_add_f64_e32 v[44:45], v[60:61], v[44:45]
	scratch_load_b64 v[60:61], off, off offset:12 th:TH_LOAD_LU ; 8-byte Folded Reload
	v_add_f64_e32 v[46:47], v[54:55], v[46:47]
	v_add_f64_e32 v[44:45], v[52:53], v[44:45]
	s_clause 0x1
	scratch_load_b64 v[52:53], off, off offset:44 th:TH_LOAD_LU
	scratch_load_b64 v[54:55], off, off offset:36 th:TH_LOAD_LU
	v_add_f64_e32 v[46:47], v[70:71], v[46:47]
	v_add_f64_e32 v[44:45], v[68:69], v[44:45]
	v_mul_f64_e32 v[70:71], s[8:9], v[104:105]
	v_mul_f64_e32 v[68:69], s[0:1], v[209:210]
	s_delay_alu instid0(VALU_DEP_4) | instskip(NEXT) | instid1(VALU_DEP_4)
	v_add_f64_e32 v[46:47], v[66:67], v[46:47]
	v_add_f64_e32 v[44:45], v[64:65], v[44:45]
	s_clause 0x1
	scratch_load_b64 v[66:67], off, off offset:244 th:TH_LOAD_LU
	scratch_load_b64 v[64:65], off, off offset:356 th:TH_LOAD_LU
	v_add_f64_e64 v[68:69], v[68:69], -v[130:131]
	v_add_f64_e32 v[46:47], v[74:75], v[46:47]
	scratch_load_b64 v[74:75], off, off offset:348 th:TH_LOAD_LU ; 8-byte Folded Reload
	v_add_f64_e32 v[44:45], v[72:73], v[44:45]
	scratch_load_b64 v[72:73], off, off offset:236 th:TH_LOAD_LU ; 8-byte Folded Reload
	v_add_f64_e32 v[46:47], v[82:83], v[46:47]
	v_add_f64_e32 v[44:45], v[80:81], v[44:45]
	s_delay_alu instid0(VALU_DEP_2) | instskip(NEXT) | instid1(VALU_DEP_2)
	v_add_f64_e32 v[46:47], v[86:87], v[46:47]
	v_add_f64_e32 v[44:45], v[84:85], v[44:45]
	s_delay_alu instid0(VALU_DEP_2) | instskip(NEXT) | instid1(VALU_DEP_2)
	;; [unrolled: 3-line block ×3, first 2 shown]
	v_add_f64_e32 v[46:47], v[78:79], v[46:47]
	v_add_f64_e32 v[44:45], v[76:77], v[44:45]
	s_delay_alu instid0(VALU_DEP_2)
	v_add_f64_e32 v[42:43], v[42:43], v[46:47]
	scratch_load_b64 v[46:47], off, off offset:68 th:TH_LOAD_LU ; 8-byte Folded Reload
	v_add_f64_e32 v[40:41], v[40:41], v[44:45]
	scratch_load_b64 v[44:45], off, off offset:76 th:TH_LOAD_LU ; 8-byte Folded Reload
	;; [unrolled: 2-line block ×7, first 2 shown]
	v_add_f64_e32 v[28:29], v[28:29], v[32:33]
	v_mul_f64_e32 v[32:33], s[20:21], v[110:111]
	s_wait_loadcnt 0x7
	v_add_f64_e64 v[70:71], v[70:71], -v[72:73]
	v_mul_f64_e32 v[72:73], s[10:11], v[144:145]
	s_delay_alu instid0(VALU_DEP_1) | instskip(SKIP_1) | instid1(VALU_DEP_4)
	v_add_f64_e64 v[72:73], v[72:73], -v[74:75]
	s_wait_loadcnt 0x0
	v_add_f64_e32 v[32:33], v[34:35], v[32:33]
	v_mul_f64_e32 v[34:35], s[20:21], v[108:109]
	s_delay_alu instid0(VALU_DEP_2) | instskip(NEXT) | instid1(VALU_DEP_2)
	v_add_f64_e32 v[32:33], v[26:27], v[32:33]
	v_add_f64_e64 v[34:35], v[34:35], -v[36:37]
	v_mul_f64_e32 v[36:37], s[18:19], v[110:111]
	s_delay_alu instid0(VALU_DEP_2) | instskip(NEXT) | instid1(VALU_DEP_2)
	v_add_f64_e32 v[34:35], v[24:25], v[34:35]
	v_add_f64_e32 v[36:37], v[38:39], v[36:37]
	v_mul_f64_e32 v[38:39], s[18:19], v[108:109]
	s_delay_alu instid0(VALU_DEP_3) | instskip(NEXT) | instid1(VALU_DEP_3)
	v_add_f64_e32 v[34:35], v[70:71], v[34:35]
	v_add_f64_e32 v[36:37], v[26:27], v[36:37]
	s_delay_alu instid0(VALU_DEP_3)
	v_add_f64_e64 v[38:39], v[38:39], -v[40:41]
	v_mul_f64_e32 v[40:41], s[16:17], v[110:111]
	scratch_load_b64 v[70:71], off, off offset:324 th:TH_LOAD_LU ; 8-byte Folded Reload
	v_add_f64_e32 v[34:35], v[72:73], v[34:35]
	scratch_load_b64 v[72:73], off, off offset:204 th:TH_LOAD_LU ; 8-byte Folded Reload
	v_add_f64_e32 v[38:39], v[24:25], v[38:39]
	v_add_f64_e32 v[40:41], v[42:43], v[40:41]
	v_mul_f64_e32 v[42:43], s[16:17], v[108:109]
	s_delay_alu instid0(VALU_DEP_1) | instskip(SKIP_1) | instid1(VALU_DEP_2)
	v_add_f64_e64 v[42:43], v[42:43], -v[44:45]
	v_mul_f64_e32 v[44:45], s[10:11], v[110:111]
	v_add_f64_e32 v[62:63], v[24:25], v[42:43]
	s_delay_alu instid0(VALU_DEP_2) | instskip(SKIP_1) | instid1(VALU_DEP_2)
	v_add_f64_e32 v[44:45], v[46:47], v[44:45]
	v_mul_f64_e32 v[46:47], s[10:11], v[108:109]
	v_add_f64_e32 v[44:45], v[26:27], v[44:45]
	s_delay_alu instid0(VALU_DEP_2) | instskip(SKIP_1) | instid1(VALU_DEP_2)
	v_add_f64_e64 v[46:47], v[46:47], -v[48:49]
	v_mul_f64_e32 v[48:49], s[8:9], v[110:111]
	v_add_f64_e32 v[46:47], v[24:25], v[46:47]
	s_delay_alu instid0(VALU_DEP_2) | instskip(SKIP_1) | instid1(VALU_DEP_1)
	v_add_f64_e32 v[48:49], v[50:51], v[48:49]
	v_mul_f64_e32 v[50:51], s[8:9], v[108:109]
	v_add_f64_e64 v[50:51], v[50:51], -v[52:53]
	v_mul_f64_e32 v[52:53], s[6:7], v[110:111]
	s_delay_alu instid0(VALU_DEP_2) | instskip(NEXT) | instid1(VALU_DEP_2)
	v_add_f64_e32 v[42:43], v[24:25], v[50:51]
	v_add_f64_e32 v[52:53], v[54:55], v[52:53]
	v_mul_f64_e32 v[54:55], s[6:7], v[108:109]
	s_delay_alu instid0(VALU_DEP_1) | instskip(SKIP_1) | instid1(VALU_DEP_2)
	v_add_f64_e64 v[54:55], v[54:55], -v[56:57]
	v_mul_f64_e32 v[56:57], s[0:1], v[110:111]
	v_add_f64_e32 v[50:51], v[24:25], v[54:55]
	s_delay_alu instid0(VALU_DEP_2) | instskip(SKIP_1) | instid1(VALU_DEP_1)
	v_add_f64_e32 v[56:57], v[58:59], v[56:57]
	v_mul_f64_e32 v[58:59], s[0:1], v[108:109]
	v_add_f64_e64 v[58:59], v[58:59], -v[60:61]
	v_add_f64_e32 v[60:61], v[26:27], v[40:41]
	v_add_f64_e32 v[40:41], v[26:27], v[48:49]
	;; [unrolled: 1-line block ×4, first 2 shown]
	v_mul_f64_e32 v[56:57], s[18:19], v[181:182]
	v_mul_f64_e32 v[26:27], s[0:1], v[211:212]
	v_add_f64_e32 v[54:55], v[24:25], v[58:59]
	v_mul_f64_e32 v[58:59], s[10:11], v[148:149]
	v_mul_f64_e32 v[24:25], s[22:23], v[241:242]
	v_add_f64_e32 v[56:57], v[243:244], v[56:57]
	v_add_f64_e32 v[26:27], v[134:135], v[26:27]
	s_delay_alu instid0(VALU_DEP_4) | instskip(SKIP_2) | instid1(VALU_DEP_2)
	v_add_f64_e32 v[58:59], v[64:65], v[58:59]
	v_mul_f64_e32 v[64:65], s[8:9], v[106:107]
	v_add_f64_e32 v[24:25], v[173:174], v[24:25]
	v_add_f64_e32 v[64:65], v[66:67], v[64:65]
	v_mul_f64_e32 v[66:67], s[22:23], v[239:240]
	s_delay_alu instid0(VALU_DEP_2) | instskip(SKIP_1) | instid1(VALU_DEP_3)
	v_add_f64_e32 v[32:33], v[64:65], v[32:33]
	v_mul_f64_e32 v[64:65], s[18:19], v[177:178]
	v_add_f64_e64 v[66:67], v[66:67], -v[171:172]
	s_delay_alu instid0(VALU_DEP_3) | instskip(NEXT) | instid1(VALU_DEP_3)
	v_add_f64_e32 v[32:33], v[58:59], v[32:33]
	v_add_f64_e64 v[64:65], v[64:65], -v[237:238]
	v_mul_f64_e32 v[58:59], s[6:7], v[128:129]
	s_delay_alu instid0(VALU_DEP_3) | instskip(NEXT) | instid1(VALU_DEP_3)
	v_add_f64_e32 v[32:33], v[56:57], v[32:33]
	v_add_f64_e32 v[34:35], v[64:65], v[34:35]
	v_mul_f64_e32 v[56:57], s[6:7], v[126:127]
	s_delay_alu instid0(VALU_DEP_4)
	v_add_f64_e32 v[58:59], v[201:202], v[58:59]
	scratch_load_b64 v[64:65], off, off offset:212 th:TH_LOAD_LU ; 8-byte Folded Reload
	v_add_f64_e32 v[26:27], v[26:27], v[32:33]
	v_add_f64_e32 v[32:33], v[68:69], v[34:35]
	v_add_f64_e64 v[56:57], v[56:57], -v[199:200]
	v_mul_f64_e32 v[34:35], s[16:17], v[165:166]
	scratch_load_b64 v[68:69], off, off offset:444 th:TH_LOAD_LU ; 8-byte Folded Reload
	v_add_f64_e32 v[24:25], v[24:25], v[26:27]
	v_add_f64_e32 v[26:27], v[66:67], v[32:33]
	v_mul_f64_e32 v[32:33], s[16:17], v[163:164]
	v_add_f64_e32 v[34:35], v[231:232], v[34:35]
	v_mul_f64_e32 v[66:67], s[20:21], v[177:178]
	v_add_f64_e32 v[24:25], v[58:59], v[24:25]
	v_add_f64_e32 v[56:57], v[56:57], v[26:27]
	v_add_f64_e64 v[32:33], v[32:33], -v[229:230]
	scratch_load_b64 v[58:59], off, off offset:332 th:TH_LOAD_LU ; 8-byte Folded Reload
	v_add_f64_e32 v[26:27], v[34:35], v[24:25]
	v_mul_f64_e32 v[34:35], s[20:21], v[181:182]
	v_add_f64_e32 v[24:25], v[32:33], v[56:57]
	scratch_load_b64 v[56:57], off, off offset:452 th:TH_LOAD_LU ; 8-byte Folded Reload
	v_mul_f64_e32 v[32:33], s[10:11], v[211:212]
	s_delay_alu instid0(VALU_DEP_1) | instskip(SKIP_3) | instid1(VALU_DEP_1)
	v_add_f64_e32 v[32:33], v[124:125], v[32:33]
	s_wait_loadcnt 0x2
	v_add_f64_e64 v[66:67], v[66:67], -v[68:69]
	v_mul_f64_e32 v[68:69], s[0:1], v[144:145]
	v_add_f64_e64 v[68:69], v[68:69], -v[70:71]
	v_mul_f64_e32 v[70:71], s[16:17], v[104:105]
	s_delay_alu instid0(VALU_DEP_1) | instskip(SKIP_4) | instid1(VALU_DEP_4)
	v_add_f64_e64 v[70:71], v[70:71], -v[72:73]
	v_mul_f64_e32 v[72:73], s[6:7], v[241:242]
	s_wait_loadcnt 0x0
	v_add_f64_e32 v[34:35], v[56:57], v[34:35]
	v_mul_f64_e32 v[56:57], s[0:1], v[148:149]
	v_add_f64_e32 v[38:39], v[70:71], v[38:39]
	s_delay_alu instid0(VALU_DEP_4) | instskip(SKIP_1) | instid1(VALU_DEP_4)
	v_add_f64_e32 v[72:73], v[161:162], v[72:73]
	v_mul_f64_e32 v[70:71], s[20:21], v[209:210]
	v_add_f64_e32 v[56:57], v[58:59], v[56:57]
	v_mul_f64_e32 v[58:59], s[16:17], v[106:107]
	v_add_f64_e32 v[38:39], v[68:69], v[38:39]
	s_delay_alu instid0(VALU_DEP_4) | instskip(NEXT) | instid1(VALU_DEP_3)
	v_add_f64_e64 v[70:71], v[70:71], -v[114:115]
	v_add_f64_e32 v[58:59], v[64:65], v[58:59]
	v_mul_f64_e32 v[64:65], s[10:11], v[209:210]
	s_delay_alu instid0(VALU_DEP_2) | instskip(NEXT) | instid1(VALU_DEP_2)
	v_add_f64_e32 v[36:37], v[58:59], v[36:37]
	v_add_f64_e64 v[64:65], v[64:65], -v[122:123]
	v_mul_f64_e32 v[58:59], s[6:7], v[239:240]
	s_delay_alu instid0(VALU_DEP_3) | instskip(SKIP_1) | instid1(VALU_DEP_3)
	v_add_f64_e32 v[36:37], v[56:57], v[36:37]
	v_mul_f64_e32 v[56:57], s[22:23], v[128:129]
	v_add_f64_e64 v[58:59], v[58:59], -v[159:160]
	s_delay_alu instid0(VALU_DEP_3)
	v_add_f64_e32 v[34:35], v[34:35], v[36:37]
	v_add_f64_e32 v[36:37], v[66:67], v[38:39]
	v_mul_f64_e32 v[38:39], s[22:23], v[126:127]
	v_add_f64_e32 v[56:57], v[197:198], v[56:57]
	s_clause 0x1
	scratch_load_b64 v[66:67], off, off offset:300 th:TH_LOAD_LU
	scratch_load_b64 v[68:69], off, off offset:188 th:TH_LOAD_LU
	v_add_f64_e32 v[32:33], v[32:33], v[34:35]
	v_add_f64_e32 v[34:35], v[64:65], v[36:37]
	v_add_f64_e64 v[38:39], v[38:39], -v[195:196]
	v_mul_f64_e32 v[36:37], s[8:9], v[165:166]
	scratch_load_b64 v[64:65], off, off offset:412 th:TH_LOAD_LU ; 8-byte Folded Reload
	v_add_f64_e32 v[32:33], v[72:73], v[32:33]
	v_add_f64_e32 v[34:35], v[58:59], v[34:35]
	v_mul_f64_e32 v[58:59], s[8:9], v[163:164]
	v_add_f64_e32 v[36:37], v[225:226], v[36:37]
	v_mul_f64_e32 v[72:73], s[16:17], v[241:242]
	v_add_f64_e32 v[32:33], v[56:57], v[32:33]
	v_add_f64_e32 v[38:39], v[38:39], v[34:35]
	v_add_f64_e64 v[58:59], v[58:59], -v[223:224]
	scratch_load_b64 v[56:57], off, off offset:308 th:TH_LOAD_LU ; 8-byte Folded Reload
	v_add_f64_e32 v[72:73], v[152:153], v[72:73]
	v_add_f64_e32 v[34:35], v[36:37], v[32:33]
	v_mul_f64_e32 v[36:37], s[22:23], v[181:182]
	v_add_f64_e32 v[32:33], v[58:59], v[38:39]
	s_clause 0x1
	scratch_load_b64 v[38:39], off, off offset:420 th:TH_LOAD_LU
	scratch_load_b64 v[58:59], off, off offset:196 th:TH_LOAD_LU
	s_wait_loadcnt 0x1
	v_add_f64_e32 v[36:37], v[38:39], v[36:37]
	v_mul_f64_e32 v[38:39], s[18:19], v[148:149]
	s_delay_alu instid0(VALU_DEP_1) | instskip(SKIP_2) | instid1(VALU_DEP_1)
	v_add_f64_e32 v[38:39], v[56:57], v[38:39]
	v_mul_f64_e32 v[56:57], s[10:11], v[106:107]
	s_wait_loadcnt 0x0
	v_add_f64_e32 v[56:57], v[58:59], v[56:57]
	v_mul_f64_e32 v[58:59], s[22:23], v[177:178]
	s_delay_alu instid0(VALU_DEP_2) | instskip(NEXT) | instid1(VALU_DEP_2)
	v_add_f64_e32 v[48:49], v[56:57], v[48:49]
	v_add_f64_e64 v[58:59], v[58:59], -v[64:65]
	v_mul_f64_e32 v[64:65], s[18:19], v[144:145]
	v_mul_f64_e32 v[56:57], s[16:17], v[239:240]
	s_delay_alu instid0(VALU_DEP_4) | instskip(NEXT) | instid1(VALU_DEP_3)
	v_add_f64_e32 v[38:39], v[38:39], v[48:49]
	v_add_f64_e64 v[64:65], v[64:65], -v[66:67]
	v_mul_f64_e32 v[66:67], s[10:11], v[104:105]
	s_delay_alu instid0(VALU_DEP_4) | instskip(NEXT) | instid1(VALU_DEP_4)
	v_add_f64_e64 v[56:57], v[56:57], -v[150:151]
	v_add_f64_e32 v[36:37], v[36:37], v[38:39]
	s_delay_alu instid0(VALU_DEP_3) | instskip(SKIP_1) | instid1(VALU_DEP_2)
	v_add_f64_e64 v[66:67], v[66:67], -v[68:69]
	v_mul_f64_e32 v[68:69], s[20:21], v[211:212]
	v_add_f64_e32 v[50:51], v[66:67], v[50:51]
	s_delay_alu instid0(VALU_DEP_2) | instskip(SKIP_1) | instid1(VALU_DEP_3)
	v_add_f64_e32 v[68:69], v[116:117], v[68:69]
	v_mul_f64_e32 v[66:67], s[16:17], v[177:178]
	v_add_f64_e32 v[48:49], v[64:65], v[50:51]
	v_mul_f64_e32 v[50:51], s[8:9], v[128:129]
	s_delay_alu instid0(VALU_DEP_4)
	v_add_f64_e32 v[36:37], v[68:69], v[36:37]
	s_clause 0x1
	scratch_load_b64 v[64:65], off, off offset:180 th:TH_LOAD_LU
	scratch_load_b64 v[68:69], off, off offset:396 th:TH_LOAD_LU
	v_add_f64_e32 v[38:39], v[58:59], v[48:49]
	v_mul_f64_e32 v[48:49], s[8:9], v[126:127]
	v_add_f64_e32 v[50:51], v[189:190], v[50:51]
	v_mul_f64_e32 v[58:59], s[0:1], v[165:166]
	v_add_f64_e32 v[36:37], v[72:73], v[36:37]
	v_add_f64_e32 v[38:39], v[70:71], v[38:39]
	scratch_load_b64 v[70:71], off, off offset:284 th:TH_LOAD_LU ; 8-byte Folded Reload
	v_add_f64_e64 v[48:49], v[48:49], -v[187:188]
	v_add_f64_e32 v[58:59], v[205:206], v[58:59]
	v_add_f64_e32 v[36:37], v[50:51], v[36:37]
	scratch_load_b64 v[72:73], off, off offset:172 th:TH_LOAD_LU ; 8-byte Folded Reload
	v_mul_f64_e32 v[50:51], s[16:17], v[181:182]
	v_add_f64_e32 v[38:39], v[56:57], v[38:39]
	v_mul_f64_e32 v[56:57], s[0:1], v[163:164]
	s_delay_alu instid0(VALU_DEP_2) | instskip(NEXT) | instid1(VALU_DEP_2)
	v_add_f64_e32 v[48:49], v[48:49], v[38:39]
	v_add_f64_e64 v[56:57], v[56:57], -v[203:204]
	v_add_f64_e32 v[38:39], v[58:59], v[36:37]
	scratch_load_b64 v[58:59], off, off offset:292 th:TH_LOAD_LU ; 8-byte Folded Reload
	v_add_f64_e32 v[36:37], v[56:57], v[48:49]
	scratch_load_b64 v[56:57], off, off offset:404 th:TH_LOAD_LU ; 8-byte Folded Reload
	v_mul_f64_e32 v[48:49], s[6:7], v[211:212]
	s_delay_alu instid0(VALU_DEP_1) | instskip(SKIP_4) | instid1(VALU_DEP_1)
	v_add_f64_e32 v[48:49], v[112:113], v[48:49]
	s_wait_loadcnt 0x4
	v_add_f64_e64 v[66:67], v[66:67], -v[68:69]
	v_mul_f64_e32 v[68:69], s[22:23], v[144:145]
	s_wait_loadcnt 0x3
	v_add_f64_e64 v[68:69], v[68:69], -v[70:71]
	v_mul_f64_e32 v[70:71], s[18:19], v[104:105]
	s_wait_loadcnt 0x2
	s_delay_alu instid0(VALU_DEP_1) | instskip(SKIP_1) | instid1(VALU_DEP_2)
	v_add_f64_e64 v[70:71], v[70:71], -v[72:73]
	v_mul_f64_e32 v[72:73], s[0:1], v[241:242]
	v_add_f64_e32 v[42:43], v[70:71], v[42:43]
	s_delay_alu instid0(VALU_DEP_2)
	v_add_f64_e32 v[72:73], v[146:147], v[72:73]
	scratch_load_b64 v[70:71], off, off offset:268 th:TH_LOAD_LU ; 8-byte Folded Reload
	s_wait_loadcnt 0x1
	v_add_f64_e32 v[50:51], v[56:57], v[50:51]
	v_mul_f64_e32 v[56:57], s[22:23], v[148:149]
	v_add_f64_e32 v[42:43], v[68:69], v[42:43]
	scratch_load_b64 v[68:69], off, off offset:380 th:TH_LOAD_LU ; 8-byte Folded Reload
	v_add_f64_e32 v[56:57], v[58:59], v[56:57]
	v_mul_f64_e32 v[58:59], s[18:19], v[106:107]
	v_add_f64_e32 v[42:43], v[66:67], v[42:43]
	v_mul_f64_e32 v[66:67], s[0:1], v[177:178]
	s_delay_alu instid0(VALU_DEP_3) | instskip(SKIP_1) | instid1(VALU_DEP_2)
	v_add_f64_e32 v[58:59], v[64:65], v[58:59]
	v_mul_f64_e32 v[64:65], s[6:7], v[209:210]
	v_add_f64_e32 v[40:41], v[58:59], v[40:41]
	s_delay_alu instid0(VALU_DEP_2) | instskip(SKIP_1) | instid1(VALU_DEP_3)
	v_add_f64_e64 v[64:65], v[64:65], -v[253:254]
	v_mul_f64_e32 v[58:59], s[0:1], v[239:240]
	v_add_f64_e32 v[40:41], v[56:57], v[40:41]
	v_mul_f64_e32 v[56:57], s[10:11], v[128:129]
	s_delay_alu instid0(VALU_DEP_3)
	v_add_f64_e64 v[58:59], v[58:59], -v[142:143]
	v_add_f64_e32 v[42:43], v[64:65], v[42:43]
	scratch_load_b64 v[64:65], off, off offset:164 th:TH_LOAD_LU ; 8-byte Folded Reload
	v_add_f64_e32 v[40:41], v[50:51], v[40:41]
	v_mul_f64_e32 v[50:51], s[10:11], v[126:127]
	v_add_f64_e32 v[56:57], v[185:186], v[56:57]
	v_add_f64_e32 v[42:43], v[58:59], v[42:43]
	v_mul_f64_e32 v[58:59], s[20:21], v[163:164]
	v_add_f64_e32 v[40:41], v[48:49], v[40:41]
	v_add_f64_e64 v[50:51], v[50:51], -v[183:184]
	v_mul_f64_e32 v[48:49], s[20:21], v[165:166]
	s_delay_alu instid0(VALU_DEP_4) | instskip(NEXT) | instid1(VALU_DEP_4)
	v_add_f64_e64 v[58:59], v[58:59], -v[207:208]
	v_add_f64_e32 v[40:41], v[72:73], v[40:41]
	s_delay_alu instid0(VALU_DEP_4) | instskip(NEXT) | instid1(VALU_DEP_4)
	v_add_f64_e32 v[50:51], v[50:51], v[42:43]
	v_add_f64_e32 v[48:49], v[213:214], v[48:49]
	scratch_load_b64 v[72:73], off, off offset:156 th:TH_LOAD_LU ; 8-byte Folded Reload
	v_add_f64_e32 v[40:41], v[56:57], v[40:41]
	scratch_load_b64 v[56:57], off, off offset:388 th:TH_LOAD_LU ; 8-byte Folded Reload
	s_wait_loadcnt 0x3
	v_add_f64_e64 v[66:67], v[66:67], -v[68:69]
	v_mul_f64_e32 v[68:69], s[16:17], v[144:145]
	v_add_f64_e32 v[42:43], v[48:49], v[40:41]
	v_add_f64_e32 v[40:41], v[58:59], v[50:51]
	scratch_load_b64 v[58:59], off, off offset:276 th:TH_LOAD_LU ; 8-byte Folded Reload
	v_mul_f64_e32 v[50:51], s[0:1], v[181:182]
	v_mul_f64_e32 v[48:49], s[8:9], v[211:212]
	v_add_f64_e64 v[68:69], v[68:69], -v[70:71]
	v_mul_f64_e32 v[70:71], s[22:23], v[104:105]
	s_delay_alu instid0(VALU_DEP_3) | instskip(SKIP_1) | instid1(VALU_DEP_2)
	v_add_f64_e32 v[48:49], v[251:252], v[48:49]
	s_wait_loadcnt 0x2
	v_add_f64_e64 v[70:71], v[70:71], -v[72:73]
	v_mul_f64_e32 v[72:73], s[20:21], v[241:242]
	s_wait_loadcnt 0x1
	v_add_f64_e32 v[50:51], v[56:57], v[50:51]
	v_mul_f64_e32 v[56:57], s[16:17], v[148:149]
	s_delay_alu instid0(VALU_DEP_4) | instskip(NEXT) | instid1(VALU_DEP_4)
	v_add_f64_e32 v[46:47], v[70:71], v[46:47]
	v_add_f64_e32 v[72:73], v[140:141], v[72:73]
	scratch_load_b64 v[70:71], off, off offset:252 th:TH_LOAD_LU ; 8-byte Folded Reload
	s_wait_loadcnt 0x1
	v_add_f64_e32 v[56:57], v[58:59], v[56:57]
	v_mul_f64_e32 v[58:59], s[22:23], v[106:107]
	v_add_f64_e32 v[46:47], v[68:69], v[46:47]
	scratch_load_b64 v[68:69], off, off offset:364 th:TH_LOAD_LU ; 8-byte Folded Reload
	v_add_f64_e32 v[58:59], v[64:65], v[58:59]
	v_mul_f64_e32 v[64:65], s[8:9], v[209:210]
	v_add_f64_e32 v[46:47], v[66:67], v[46:47]
	v_mul_f64_e32 v[66:67], s[8:9], v[177:178]
	s_delay_alu instid0(VALU_DEP_4) | instskip(NEXT) | instid1(VALU_DEP_4)
	v_add_f64_e32 v[44:45], v[58:59], v[44:45]
	v_add_f64_e64 v[64:65], v[64:65], -v[249:250]
	v_mul_f64_e32 v[58:59], s[20:21], v[239:240]
	s_delay_alu instid0(VALU_DEP_3) | instskip(SKIP_1) | instid1(VALU_DEP_3)
	v_add_f64_e32 v[44:45], v[56:57], v[44:45]
	v_mul_f64_e32 v[56:57], s[18:19], v[128:129]
	v_add_f64_e64 v[58:59], v[58:59], -v[138:139]
	v_add_f64_e32 v[46:47], v[64:65], v[46:47]
	scratch_load_b64 v[64:65], off, off offset:148 th:TH_LOAD_LU ; 8-byte Folded Reload
	v_add_f64_e32 v[44:45], v[50:51], v[44:45]
	v_mul_f64_e32 v[50:51], s[18:19], v[126:127]
	v_add_f64_e32 v[56:57], v[179:180], v[56:57]
	v_add_f64_e32 v[46:47], v[58:59], v[46:47]
	v_mul_f64_e32 v[58:59], s[6:7], v[163:164]
	v_add_f64_e32 v[44:45], v[48:49], v[44:45]
	v_add_f64_e64 v[50:51], v[50:51], -v[175:176]
	v_mul_f64_e32 v[48:49], s[6:7], v[165:166]
	s_delay_alu instid0(VALU_DEP_4) | instskip(NEXT) | instid1(VALU_DEP_4)
	v_add_f64_e64 v[58:59], v[58:59], -v[215:216]
	v_add_f64_e32 v[44:45], v[72:73], v[44:45]
	s_delay_alu instid0(VALU_DEP_4) | instskip(NEXT) | instid1(VALU_DEP_4)
	v_add_f64_e32 v[50:51], v[50:51], v[46:47]
	v_add_f64_e32 v[48:49], v[217:218], v[48:49]
	scratch_load_b64 v[72:73], off, off offset:140 th:TH_LOAD_LU ; 8-byte Folded Reload
	v_add_f64_e32 v[44:45], v[56:57], v[44:45]
	scratch_load_b64 v[56:57], off, off offset:372 th:TH_LOAD_LU ; 8-byte Folded Reload
	v_add_f64_e32 v[46:47], v[48:49], v[44:45]
	v_add_f64_e32 v[44:45], v[58:59], v[50:51]
	scratch_load_b64 v[58:59], off, off offset:260 th:TH_LOAD_LU ; 8-byte Folded Reload
	v_mul_f64_e32 v[50:51], s[8:9], v[181:182]
	v_mul_f64_e32 v[48:49], s[22:23], v[211:212]
	s_wait_loadcnt 0x4
	v_add_f64_e64 v[66:67], v[66:67], -v[68:69]
	v_mul_f64_e32 v[68:69], s[6:7], v[144:145]
	s_delay_alu instid0(VALU_DEP_3) | instskip(NEXT) | instid1(VALU_DEP_2)
	v_add_f64_e32 v[48:49], v[247:248], v[48:49]
	v_add_f64_e64 v[68:69], v[68:69], -v[70:71]
	v_mul_f64_e32 v[70:71], s[20:21], v[104:105]
	s_wait_loadcnt 0x2
	s_delay_alu instid0(VALU_DEP_1) | instskip(SKIP_4) | instid1(VALU_DEP_3)
	v_add_f64_e64 v[70:71], v[70:71], -v[72:73]
	v_mul_f64_e32 v[72:73], s[10:11], v[241:242]
	s_wait_loadcnt 0x1
	v_add_f64_e32 v[50:51], v[56:57], v[50:51]
	v_mul_f64_e32 v[56:57], s[6:7], v[148:149]
	v_add_f64_e32 v[72:73], v[136:137], v[72:73]
	s_wait_loadcnt 0x0
	s_delay_alu instid0(VALU_DEP_2) | instskip(SKIP_1) | instid1(VALU_DEP_1)
	v_add_f64_e32 v[56:57], v[58:59], v[56:57]
	v_mul_f64_e32 v[58:59], s[20:21], v[106:107]
	v_add_f64_e32 v[58:59], v[64:65], v[58:59]
	v_mul_f64_e32 v[64:65], s[22:23], v[209:210]
	s_delay_alu instid0(VALU_DEP_2) | instskip(SKIP_1) | instid1(VALU_DEP_3)
	v_add_f64_e32 v[58:59], v[58:59], v[60:61]
	v_add_f64_e32 v[60:61], v[70:71], v[62:63]
	v_add_f64_e64 v[64:65], v[64:65], -v[245:246]
	v_mul_f64_e32 v[62:63], s[10:11], v[239:240]
	scratch_load_b64 v[70:71], off, off offset:436 th:TH_LOAD_LU ; 8-byte Folded Reload
	v_add_f64_e32 v[56:57], v[56:57], v[58:59]
	v_add_f64_e32 v[58:59], v[68:69], v[60:61]
	v_mul_f64_e32 v[60:61], s[0:1], v[128:129]
	v_add_f64_e64 v[62:63], v[62:63], -v[132:133]
	s_delay_alu instid0(VALU_DEP_4) | instskip(NEXT) | instid1(VALU_DEP_4)
	v_add_f64_e32 v[50:51], v[50:51], v[56:57]
	v_add_f64_e32 v[56:57], v[66:67], v[58:59]
	v_mul_f64_e32 v[58:59], s[0:1], v[126:127]
	v_add_f64_e32 v[60:61], v[169:170], v[60:61]
	scratch_load_b64 v[66:67], off, off offset:220 th:TH_LOAD_LU ; 8-byte Folded Reload
	v_add_f64_e32 v[48:49], v[48:49], v[50:51]
	v_add_f64_e32 v[50:51], v[64:65], v[56:57]
	v_add_f64_e64 v[58:59], v[58:59], -v[167:168]
	v_mul_f64_e32 v[56:57], s[18:19], v[165:166]
	scratch_load_b64 v[64:65], off, off offset:108 th:TH_LOAD_LU ; 8-byte Folded Reload
	v_add_f64_e32 v[48:49], v[72:73], v[48:49]
	scratch_load_b64 v[72:73], off, off offset:428 th:TH_LOAD_LU ; 8-byte Folded Reload
	v_add_f64_e32 v[50:51], v[62:63], v[50:51]
	v_mul_f64_e32 v[62:63], s[18:19], v[163:164]
	v_add_f64_e32 v[56:57], v[221:222], v[56:57]
	scratch_load_b64 v[68:69], off, off offset:316 th:TH_LOAD_LU ; 8-byte Folded Reload
	v_add_f64_e32 v[48:49], v[60:61], v[48:49]
	scratch_load_b64 v[60:61], off, off offset:228 th:TH_LOAD_LU ; 8-byte Folded Reload
	v_add_f64_e32 v[58:59], v[58:59], v[50:51]
	v_add_f64_e64 v[62:63], v[62:63], -v[219:220]
	v_add_f64_e32 v[50:51], v[56:57], v[48:49]
	v_mul_f64_e32 v[56:57], s[10:11], v[181:182]
	s_delay_alu instid0(VALU_DEP_3)
	v_add_f64_e32 v[48:49], v[62:63], v[58:59]
	s_clause 0x1
	scratch_load_b64 v[58:59], off, off offset:340 th:TH_LOAD_LU
	scratch_load_b64 v[62:63], off, off offset:116 th:TH_LOAD_LU
	s_wait_loadcnt 0x1
	v_add_f64_e32 v[56:57], v[58:59], v[56:57]
	v_mul_f64_e32 v[58:59], s[8:9], v[148:149]
	s_delay_alu instid0(VALU_DEP_1) | instskip(SKIP_2) | instid1(VALU_DEP_1)
	v_add_f64_e32 v[58:59], v[60:61], v[58:59]
	v_mul_f64_e32 v[60:61], s[6:7], v[106:107]
	s_wait_loadcnt 0x0
	v_add_f64_e32 v[60:61], v[62:63], v[60:61]
	v_mul_f64_e32 v[62:63], s[6:7], v[104:105]
	s_delay_alu instid0(VALU_DEP_2) | instskip(NEXT) | instid1(VALU_DEP_2)
	v_add_f64_e32 v[52:53], v[60:61], v[52:53]
	v_add_f64_e64 v[62:63], v[62:63], -v[64:65]
	v_mul_f64_e32 v[64:65], s[8:9], v[144:145]
	v_mul_f64_e32 v[60:61], s[18:19], v[239:240]
	s_delay_alu instid0(VALU_DEP_4) | instskip(NEXT) | instid1(VALU_DEP_4)
	v_add_f64_e32 v[52:53], v[58:59], v[52:53]
	v_add_f64_e32 v[54:55], v[62:63], v[54:55]
	s_delay_alu instid0(VALU_DEP_4)
	v_add_f64_e64 v[64:65], v[64:65], -v[66:67]
	v_mul_f64_e32 v[66:67], s[10:11], v[177:178]
	v_add_f64_e64 v[60:61], v[60:61], -v[118:119]
	v_mul_f64_e32 v[58:59], s[20:21], v[128:129]
	v_mul_f64_e32 v[62:63], s[22:23], v[165:166]
	v_add_f64_e32 v[52:53], v[56:57], v[52:53]
	v_mul_f64_e32 v[56:57], s[20:21], v[126:127]
	v_add_f64_e32 v[54:55], v[64:65], v[54:55]
	v_add_f64_e64 v[66:67], v[66:67], -v[68:69]
	v_mul_f64_e32 v[68:69], s[16:17], v[211:212]
	v_add_f64_e32 v[58:59], v[157:158], v[58:59]
	v_add_f64_e32 v[62:63], v[193:194], v[62:63]
	v_add_f64_e64 v[56:57], v[56:57], -v[154:155]
	v_add_f64_e32 v[54:55], v[66:67], v[54:55]
	v_add_f64_e32 v[68:69], v[70:71], v[68:69]
	v_mul_f64_e32 v[70:71], s[16:17], v[209:210]
	s_delay_alu instid0(VALU_DEP_2) | instskip(NEXT) | instid1(VALU_DEP_2)
	v_add_f64_e32 v[52:53], v[68:69], v[52:53]
	v_add_f64_e64 v[70:71], v[70:71], -v[72:73]
	v_mul_f64_e32 v[72:73], s[18:19], v[241:242]
	s_delay_alu instid0(VALU_DEP_2) | instskip(NEXT) | instid1(VALU_DEP_2)
	v_add_f64_e32 v[54:55], v[70:71], v[54:55]
	v_add_f64_e32 v[72:73], v[120:121], v[72:73]
	s_delay_alu instid0(VALU_DEP_2) | instskip(NEXT) | instid1(VALU_DEP_2)
	v_add_f64_e32 v[54:55], v[60:61], v[54:55]
	v_add_f64_e32 v[52:53], v[72:73], v[52:53]
	v_mul_f64_e32 v[60:61], s[22:23], v[163:164]
	s_delay_alu instid0(VALU_DEP_3) | instskip(NEXT) | instid1(VALU_DEP_3)
	v_add_f64_e32 v[56:57], v[56:57], v[54:55]
	v_add_f64_e32 v[52:53], v[58:59], v[52:53]
	s_delay_alu instid0(VALU_DEP_3) | instskip(NEXT) | instid1(VALU_DEP_2)
	v_add_f64_e64 v[60:61], v[60:61], -v[191:192]
	v_add_f64_e32 v[54:55], v[62:63], v[52:53]
	s_delay_alu instid0(VALU_DEP_2) | instskip(SKIP_1) | instid1(VALU_DEP_1)
	v_add_f64_e32 v[52:53], v[60:61], v[56:57]
	v_mul_lo_u16 v56, v156, 17
	v_and_b32_e32 v56, 0xffff, v56
	s_delay_alu instid0(VALU_DEP_1)
	v_lshlrev_b32_e32 v56, 4, v56
	ds_store_b128 v56, v[36:39] offset:32
	ds_store_b128 v56, v[40:43] offset:48
	;; [unrolled: 1-line block ×15, first 2 shown]
	ds_store_b128 v56, v[28:31]
	ds_store_b128 v56, v[0:3] offset:256
.LBB0_7:
	s_wait_alu 0xfffe
	s_or_b32 exec_lo, exec_lo, s24
	v_and_b32_e32 v24, 0xff, v156
	s_load_b128 s[4:7], s[4:5], 0x0
	global_wb scope:SCOPE_SE
	s_wait_dscnt 0x0
	s_wait_kmcnt 0x0
	s_barrier_signal -1
	s_barrier_wait -1
	v_mul_lo_u16 v24, 0xf1, v24
	global_inv scope:SCOPE_SE
	s_mov_b32 s0, 0x667f3bcd
	s_mov_b32 s1, 0xbfe6a09e
	;; [unrolled: 1-line block ×3, first 2 shown]
	v_lshrrev_b16 v120, 12, v24
	s_wait_alu 0xfffe
	s_mov_b32 s8, s0
	s_delay_alu instid0(VALU_DEP_1) | instskip(NEXT) | instid1(VALU_DEP_1)
	v_mul_lo_u16 v24, v120, 17
	v_sub_nc_u16 v24, v156, v24
	s_delay_alu instid0(VALU_DEP_1) | instskip(NEXT) | instid1(VALU_DEP_1)
	v_and_b32_e32 v121, 0xff, v24
	v_mad_co_u64_u32 v[36:37], null, 0x70, v121, s[2:3]
	s_clause 0x6
	global_load_b128 v[32:35], v[36:37], off
	global_load_b128 v[28:31], v[36:37], off offset:16
	global_load_b128 v[24:27], v[36:37], off offset:48
	;; [unrolled: 1-line block ×6, first 2 shown]
	ds_load_b128 v[36:39], v255 offset:2992
	ds_load_b128 v[56:59], v255 offset:5984
	;; [unrolled: 1-line block ×7, first 2 shown]
	s_wait_loadcnt_dscnt 0x606
	v_mul_f64_e32 v[80:81], v[38:39], v[34:35]
	v_mul_f64_e32 v[82:83], v[36:37], v[34:35]
	s_wait_loadcnt_dscnt 0x505
	v_mul_f64_e32 v[84:85], v[58:59], v[30:31]
	v_mul_f64_e32 v[86:87], v[56:57], v[30:31]
	;; [unrolled: 3-line block ×7, first 2 shown]
	v_fma_f64 v[80:81], v[36:37], v[32:33], -v[80:81]
	v_fma_f64 v[82:83], v[38:39], v[32:33], v[82:83]
	v_fma_f64 v[56:57], v[56:57], v[28:29], -v[84:85]
	v_fma_f64 v[58:59], v[58:59], v[28:29], v[86:87]
	;; [unrolled: 2-line block ×7, first 2 shown]
	ds_load_b128 v[36:39], v255
	global_wb scope:SCOPE_SE
	s_wait_dscnt 0x0
	s_barrier_signal -1
	s_barrier_wait -1
	global_inv scope:SCOPE_SE
	v_add_f64_e64 v[60:61], v[36:37], -v[60:61]
	v_add_f64_e64 v[62:63], v[38:39], -v[62:63]
	;; [unrolled: 1-line block ×8, first 2 shown]
	v_fma_f64 v[36:37], v[36:37], 2.0, -v[60:61]
	v_fma_f64 v[38:39], v[38:39], 2.0, -v[62:63]
	;; [unrolled: 1-line block ×6, first 2 shown]
	v_add_f64_e64 v[66:67], v[60:61], -v[66:67]
	v_add_f64_e32 v[64:65], v[62:63], v[64:65]
	v_fma_f64 v[72:73], v[72:73], 2.0, -v[76:77]
	v_fma_f64 v[74:75], v[74:75], 2.0, -v[78:79]
	v_add_f64_e64 v[78:79], v[68:69], -v[78:79]
	v_add_f64_e32 v[76:77], v[70:71], v[76:77]
	v_add_f64_e64 v[56:57], v[36:37], -v[56:57]
	v_add_f64_e64 v[58:59], v[38:39], -v[58:59]
	v_fma_f64 v[60:61], v[60:61], 2.0, -v[66:67]
	v_fma_f64 v[62:63], v[62:63], 2.0, -v[64:65]
	v_add_f64_e64 v[72:73], v[80:81], -v[72:73]
	v_add_f64_e64 v[74:75], v[82:83], -v[74:75]
	v_fma_f64 v[68:69], v[68:69], 2.0, -v[78:79]
	v_fma_f64 v[70:71], v[70:71], 2.0, -v[76:77]
	s_wait_alu 0xfffe
	v_fma_f64 v[84:85], v[78:79], s[8:9], v[66:67]
	v_fma_f64 v[86:87], v[76:77], s[8:9], v[64:65]
	v_fma_f64 v[36:37], v[36:37], 2.0, -v[56:57]
	v_fma_f64 v[38:39], v[38:39], 2.0, -v[58:59]
	;; [unrolled: 1-line block ×4, first 2 shown]
	v_fma_f64 v[104:105], v[68:69], s[0:1], v[60:61]
	v_fma_f64 v[106:107], v[70:71], s[0:1], v[62:63]
	v_add_f64_e64 v[108:109], v[56:57], -v[74:75]
	v_add_f64_e32 v[110:111], v[58:59], v[72:73]
	v_fma_f64 v[88:89], v[76:77], s[0:1], v[84:85]
	v_fma_f64 v[90:91], v[78:79], s[8:9], v[86:87]
	v_add_f64_e64 v[84:85], v[36:37], -v[80:81]
	v_add_f64_e64 v[86:87], v[38:39], -v[82:83]
	v_fma_f64 v[112:113], v[70:71], s[0:1], v[104:105]
	v_fma_f64 v[114:115], v[68:69], s[8:9], v[106:107]
	v_fma_f64 v[68:69], v[56:57], 2.0, -v[108:109]
	v_fma_f64 v[70:71], v[58:59], 2.0, -v[110:111]
	;; [unrolled: 1-line block ×4, first 2 shown]
	v_cmp_gt_u16_e64 s0, 0x88, v156
	v_fma_f64 v[104:105], v[36:37], 2.0, -v[84:85]
	v_fma_f64 v[106:107], v[38:39], 2.0, -v[86:87]
	;; [unrolled: 1-line block ×4, first 2 shown]
	v_and_b32_e32 v36, 0xffff, v120
	s_delay_alu instid0(VALU_DEP_1) | instskip(NEXT) | instid1(VALU_DEP_1)
	v_mul_u32_u24_e32 v36, 0x88, v36
	v_add_lshl_u32 v245, v36, v121, 4
	ds_store_b128 v245, v[108:111] offset:1632
	ds_store_b128 v245, v[88:91] offset:1904
	;; [unrolled: 1-line block ×6, first 2 shown]
	ds_store_b128 v245, v[104:107]
	ds_store_b128 v245, v[60:63] offset:272
	global_wb scope:SCOPE_SE
	s_wait_dscnt 0x0
	s_barrier_signal -1
	s_barrier_wait -1
	global_inv scope:SCOPE_SE
	s_and_saveexec_b32 s1, s0
	s_cbranch_execz .LBB0_9
; %bb.8:
	ds_load_b128 v[104:107], v255
	ds_load_b128 v[60:63], v255 offset:2176
	ds_load_b128 v[68:71], v255 offset:4352
	;; [unrolled: 1-line block ×10, first 2 shown]
.LBB0_9:
	s_wait_alu 0xfffe
	s_or_b32 exec_lo, exec_lo, s1
	v_add_nc_u32_e32 v36, 0xffffff78, v156
	s_mov_b32 s22, 0xf8bb580b
	s_mov_b32 s18, 0x43842ef
	;; [unrolled: 1-line block ×4, first 2 shown]
	v_cndmask_b32_e64 v36, v36, v156, s0
	s_mov_b32 s23, 0xbfe14ced
	s_mov_b32 s17, 0xbfed1bb4
	;; [unrolled: 1-line block ×4, first 2 shown]
	v_mul_i32_i24_e32 v37, 0xa0, v36
	v_mul_hi_i32_i24_e32 v36, 0xa0, v36
	s_mov_b32 s25, 0xbfe82f19
	s_mov_b32 s27, 0xbfd207e7
	;; [unrolled: 1-line block ×3, first 2 shown]
	v_add_co_u32 v124, s1, s2, v37
	s_wait_alu 0xf1ff
	v_add_co_ci_u32_e64 v125, s1, s3, v36, s1
	s_mov_b32 s2, 0xd9c712b6
	s_mov_b32 s10, 0x640f44db
	;; [unrolled: 1-line block ×3, first 2 shown]
	s_clause 0x1
	global_load_b128 v[36:39], v[124:125], off offset:1904
	global_load_b128 v[56:59], v[124:125], off offset:1920
	s_mov_b32 s28, 0x9bcd5057
	s_mov_b32 s9, 0x3feaeb8c
	;; [unrolled: 1-line block ×7, first 2 shown]
	s_wait_alu 0xfffe
	s_mov_b32 s34, s26
	s_mov_b32 s37, 0x3fefac9e
	;; [unrolled: 1-line block ×5, first 2 shown]
	s_wait_loadcnt_dscnt 0x109
	v_mul_f64_e32 v[64:65], v[62:63], v[38:39]
	s_delay_alu instid0(VALU_DEP_1) | instskip(SKIP_1) | instid1(VALU_DEP_1)
	v_fma_f64 v[120:121], v[60:61], v[36:37], -v[64:65]
	v_mul_f64_e32 v[60:61], v[60:61], v[38:39]
	v_fma_f64 v[122:123], v[62:63], v[36:37], v[60:61]
	s_clause 0x1
	global_load_b128 v[60:63], v[124:125], off offset:2048
	global_load_b128 v[64:67], v[124:125], off offset:2032
	v_add_f64_e32 v[179:180], v[106:107], v[122:123]
	s_wait_loadcnt_dscnt 0x100
	v_mul_f64_e32 v[76:77], v[92:93], v[62:63]
	s_delay_alu instid0(VALU_DEP_1) | instskip(SKIP_1) | instid1(VALU_DEP_2)
	v_fma_f64 v[116:117], v[94:95], v[60:61], v[76:77]
	v_mul_f64_e32 v[76:77], v[94:95], v[62:63]
	v_add_f64_e32 v[167:168], v[122:123], v[116:117]
	s_delay_alu instid0(VALU_DEP_2) | instskip(SKIP_1) | instid1(VALU_DEP_1)
	v_fma_f64 v[92:93], v[92:93], v[60:61], -v[76:77]
	v_mul_f64_e32 v[76:77], v[70:71], v[58:59]
	v_fma_f64 v[128:129], v[68:69], v[56:57], -v[76:77]
	v_mul_f64_e32 v[68:69], v[68:69], v[58:59]
	s_delay_alu instid0(VALU_DEP_1) | instskip(SKIP_2) | instid1(VALU_DEP_1)
	v_fma_f64 v[130:131], v[70:71], v[56:57], v[68:69]
	s_wait_loadcnt 0x0
	v_mul_f64_e32 v[68:69], v[100:101], v[66:67]
	v_fma_f64 v[94:95], v[102:103], v[64:65], v[68:69]
	v_mul_f64_e32 v[68:69], v[102:103], v[66:67]
	s_delay_alu instid0(VALU_DEP_2) | instskip(NEXT) | instid1(VALU_DEP_2)
	v_add_f64_e64 v[193:194], v[130:131], -v[94:95]
	v_fma_f64 v[118:119], v[100:101], v[64:65], -v[68:69]
	s_clause 0x1
	global_load_b128 v[68:71], v[124:125], off offset:1936
	global_load_b128 v[76:79], v[124:125], off offset:1952
	v_add_f64_e32 v[199:200], v[130:131], v[94:95]
	v_add_f64_e32 v[130:131], v[179:180], v[130:131]
	;; [unrolled: 1-line block ×3, first 2 shown]
	v_add_f64_e64 v[197:198], v[128:129], -v[118:119]
	s_wait_loadcnt 0x1
	v_mul_f64_e32 v[80:81], v[74:75], v[70:71]
	s_delay_alu instid0(VALU_DEP_1) | instskip(SKIP_1) | instid1(VALU_DEP_1)
	v_fma_f64 v[140:141], v[72:73], v[68:69], -v[80:81]
	v_mul_f64_e32 v[72:73], v[72:73], v[70:71]
	v_fma_f64 v[142:143], v[74:75], v[68:69], v[72:73]
	s_clause 0x1
	global_load_b128 v[72:75], v[124:125], off offset:2016
	global_load_b128 v[80:83], v[124:125], off offset:2000
	v_add_f64_e32 v[130:131], v[130:131], v[142:143]
	s_wait_loadcnt 0x1
	v_mul_f64_e32 v[100:101], v[96:97], v[74:75]
	s_delay_alu instid0(VALU_DEP_1) | instskip(SKIP_1) | instid1(VALU_DEP_2)
	v_fma_f64 v[144:145], v[98:99], v[72:73], v[100:101]
	v_mul_f64_e32 v[98:99], v[98:99], v[74:75]
	v_add_f64_e64 v[201:202], v[142:143], -v[144:145]
	s_delay_alu instid0(VALU_DEP_2) | instskip(SKIP_2) | instid1(VALU_DEP_3)
	v_fma_f64 v[146:147], v[96:97], v[72:73], -v[98:99]
	v_mul_f64_e32 v[96:97], v[86:87], v[78:79]
	v_add_f64_e32 v[207:208], v[142:143], v[144:145]
	v_add_f64_e32 v[203:204], v[140:141], v[146:147]
	s_delay_alu instid0(VALU_DEP_3) | instskip(SKIP_2) | instid1(VALU_DEP_2)
	v_fma_f64 v[152:153], v[84:85], v[76:77], -v[96:97]
	v_mul_f64_e32 v[84:85], v[84:85], v[78:79]
	v_add_f64_e64 v[205:206], v[140:141], -v[146:147]
	v_fma_f64 v[154:155], v[86:87], v[76:77], v[84:85]
	s_wait_loadcnt 0x0
	v_mul_f64_e32 v[84:85], v[90:91], v[82:83]
	s_delay_alu instid0(VALU_DEP_2) | instskip(NEXT) | instid1(VALU_DEP_2)
	v_add_f64_e32 v[130:131], v[130:131], v[154:155]
	v_fma_f64 v[148:149], v[88:89], v[80:81], -v[84:85]
	v_mul_f64_e32 v[84:85], v[88:89], v[82:83]
	s_delay_alu instid0(VALU_DEP_2) | instskip(NEXT) | instid1(VALU_DEP_2)
	v_add_f64_e32 v[211:212], v[152:153], v[148:149]
	v_fma_f64 v[150:151], v[90:91], v[80:81], v[84:85]
	s_clause 0x1
	global_load_b128 v[84:87], v[124:125], off offset:1968
	global_load_b128 v[88:91], v[124:125], off offset:1984
	v_add_f64_e64 v[213:214], v[152:153], -v[148:149]
	v_add_f64_e64 v[209:210], v[154:155], -v[150:151]
	v_add_f64_e32 v[215:216], v[154:155], v[150:151]
	s_wait_loadcnt 0x1
	v_mul_f64_e32 v[96:97], v[114:115], v[86:87]
	s_delay_alu instid0(VALU_DEP_1) | instskip(SKIP_1) | instid1(VALU_DEP_1)
	v_fma_f64 v[157:158], v[112:113], v[84:85], -v[96:97]
	v_mul_f64_e32 v[96:97], v[112:113], v[86:87]
	v_fma_f64 v[159:160], v[114:115], v[84:85], v[96:97]
	s_wait_loadcnt 0x0
	v_mul_f64_e32 v[96:97], v[110:111], v[90:91]
	s_delay_alu instid0(VALU_DEP_2) | instskip(NEXT) | instid1(VALU_DEP_2)
	v_add_f64_e32 v[130:131], v[130:131], v[159:160]
	v_fma_f64 v[161:162], v[108:109], v[88:89], -v[96:97]
	v_mul_f64_e32 v[96:97], v[108:109], v[90:91]
	s_delay_alu instid0(VALU_DEP_2) | instskip(NEXT) | instid1(VALU_DEP_2)
	v_add_f64_e32 v[219:220], v[157:158], v[161:162]
	v_fma_f64 v[163:164], v[110:111], v[88:89], v[96:97]
	v_add_f64_e64 v[96:97], v[122:123], -v[116:117]
	v_add_f64_e32 v[110:111], v[120:121], v[92:93]
	v_add_f64_e64 v[221:222], v[157:158], -v[161:162]
	s_delay_alu instid0(VALU_DEP_4) | instskip(NEXT) | instid1(VALU_DEP_4)
	v_add_f64_e64 v[217:218], v[159:160], -v[163:164]
	v_mul_f64_e32 v[98:99], s[22:23], v[96:97]
	v_mul_f64_e32 v[100:101], s[16:17], v[96:97]
	;; [unrolled: 1-line block ×5, first 2 shown]
	v_add_f64_e32 v[223:224], v[159:160], v[163:164]
	v_add_f64_e32 v[130:131], v[130:131], v[163:164]
	v_fma_f64 v[112:113], v[110:111], s[8:9], -v[98:99]
	v_fma_f64 v[98:99], v[110:111], s[8:9], v[98:99]
	v_fma_f64 v[114:115], v[110:111], s[2:3], -v[100:101]
	v_fma_f64 v[100:101], v[110:111], s[2:3], v[100:101]
	;; [unrolled: 2-line block ×5, first 2 shown]
	v_add_f64_e64 v[110:111], v[120:121], -v[92:93]
	v_add_f64_e32 v[130:131], v[130:131], v[150:151]
	v_add_f64_e32 v[112:113], v[104:105], v[112:113]
	;; [unrolled: 1-line block ×10, first 2 shown]
	v_mul_f64_e32 v[134:135], s[22:23], v[110:111]
	v_mul_f64_e32 v[136:137], s[16:17], v[110:111]
	;; [unrolled: 1-line block ×6, first 2 shown]
	v_add_f64_e32 v[130:131], v[130:131], v[144:145]
	v_fma_f64 v[169:170], v[167:168], s[8:9], v[134:135]
	v_fma_f64 v[171:172], v[167:168], s[2:3], v[136:137]
	v_fma_f64 v[134:135], v[167:168], s[8:9], -v[134:135]
	v_fma_f64 v[136:137], v[167:168], s[2:3], -v[136:137]
	v_fma_f64 v[173:174], v[167:168], s[10:11], v[138:139]
	v_fma_f64 v[138:139], v[167:168], s[10:11], -v[138:139]
	v_fma_f64 v[175:176], v[167:168], s[20:21], v[165:166]
	;; [unrolled: 2-line block ×3, first 2 shown]
	v_fma_f64 v[110:111], v[167:168], s[28:29], -v[110:111]
	v_add_f64_e32 v[167:168], v[104:105], v[120:121]
	v_fma_f64 v[98:99], v[199:200], s[2:3], v[102:103]
	v_fma_f64 v[102:103], v[199:200], s[2:3], -v[102:103]
	v_add_f64_e32 v[94:95], v[130:131], v[94:95]
	v_add_f64_e32 v[120:121], v[106:107], v[169:170]
	;; [unrolled: 1-line block ×4, first 2 shown]
	v_mul_f64_e32 v[100:101], s[16:17], v[193:194]
	v_mul_f64_e32 v[104:105], s[18:19], v[201:202]
	v_add_f64_e32 v[134:135], v[106:107], v[134:135]
	v_add_f64_e32 v[136:137], v[106:107], v[136:137]
	;; [unrolled: 1-line block ×8, first 2 shown]
	s_mov_b32 s17, 0x3fed1bb4
	v_add_f64_e32 v[128:129], v[167:168], v[128:129]
	v_add_f64_e32 v[94:95], v[94:95], v[116:117]
	;; [unrolled: 1-line block ×3, first 2 shown]
	v_fma_f64 v[96:97], v[195:196], s[2:3], -v[100:101]
	v_fma_f64 v[106:107], v[203:204], s[10:11], -v[104:105]
	v_fma_f64 v[100:101], v[195:196], s[2:3], v[100:101]
	v_fma_f64 v[104:105], v[203:204], s[10:11], v[104:105]
	v_add_f64_e32 v[102:103], v[102:103], v[134:135]
	v_add_f64_e32 v[128:129], v[128:129], v[140:141]
	;; [unrolled: 1-line block ×4, first 2 shown]
	s_delay_alu instid0(VALU_DEP_3) | instskip(NEXT) | instid1(VALU_DEP_3)
	v_add_f64_e32 v[128:129], v[128:129], v[152:153]
	v_add_f64_e32 v[96:97], v[106:107], v[96:97]
	v_mul_f64_e32 v[106:107], s[18:19], v[205:206]
	s_delay_alu instid0(VALU_DEP_4) | instskip(NEXT) | instid1(VALU_DEP_4)
	v_add_f64_e32 v[100:101], v[104:105], v[100:101]
	v_add_f64_e32 v[128:129], v[128:129], v[157:158]
	s_delay_alu instid0(VALU_DEP_3) | instskip(SKIP_1) | instid1(VALU_DEP_3)
	v_fma_f64 v[108:109], v[207:208], s[10:11], v[106:107]
	v_fma_f64 v[104:105], v[207:208], s[10:11], -v[106:107]
	v_add_f64_e32 v[128:129], v[128:129], v[161:162]
	s_delay_alu instid0(VALU_DEP_3) | instskip(SKIP_1) | instid1(VALU_DEP_4)
	v_add_f64_e32 v[98:99], v[108:109], v[98:99]
	v_mul_f64_e32 v[108:109], s[24:25], v[209:210]
	v_add_f64_e32 v[102:103], v[104:105], v[102:103]
	s_delay_alu instid0(VALU_DEP_4) | instskip(NEXT) | instid1(VALU_DEP_3)
	v_add_f64_e32 v[128:129], v[128:129], v[148:149]
	v_fma_f64 v[110:111], v[211:212], s[20:21], -v[108:109]
	v_fma_f64 v[104:105], v[211:212], s[20:21], v[108:109]
	v_mul_f64_e32 v[108:109], s[24:25], v[193:194]
	s_delay_alu instid0(VALU_DEP_4) | instskip(NEXT) | instid1(VALU_DEP_4)
	v_add_f64_e32 v[128:129], v[128:129], v[146:147]
	v_add_f64_e32 v[96:97], v[110:111], v[96:97]
	v_mul_f64_e32 v[110:111], s[24:25], v[213:214]
	v_add_f64_e32 v[100:101], v[104:105], v[100:101]
	s_delay_alu instid0(VALU_DEP_4) | instskip(NEXT) | instid1(VALU_DEP_3)
	v_add_f64_e32 v[118:119], v[128:129], v[118:119]
	v_fma_f64 v[112:113], v[215:216], s[20:21], v[110:111]
	v_fma_f64 v[104:105], v[215:216], s[20:21], -v[110:111]
	v_mul_f64_e32 v[110:111], s[24:25], v[197:198]
	s_delay_alu instid0(VALU_DEP_4) | instskip(NEXT) | instid1(VALU_DEP_4)
	v_add_f64_e32 v[92:93], v[118:119], v[92:93]
	v_add_f64_e32 v[98:99], v[112:113], v[98:99]
	v_mul_f64_e32 v[112:113], s[26:27], v[217:218]
	v_add_f64_e32 v[102:103], v[104:105], v[102:103]
	s_delay_alu instid0(VALU_DEP_2) | instskip(SKIP_3) | instid1(VALU_DEP_3)
	v_fma_f64 v[120:121], v[219:220], s[28:29], -v[112:113]
	v_fma_f64 v[104:105], v[219:220], s[28:29], v[112:113]
	s_wait_alu 0xfffe
	v_mul_f64_e32 v[112:113], s[34:35], v[201:202]
	v_add_f64_e32 v[96:97], v[120:121], v[96:97]
	v_mul_f64_e32 v[120:121], s[26:27], v[221:222]
	s_delay_alu instid0(VALU_DEP_4) | instskip(SKIP_2) | instid1(VALU_DEP_4)
	v_add_f64_e32 v[100:101], v[104:105], v[100:101]
	v_fma_f64 v[104:105], v[195:196], s[20:21], -v[108:109]
	v_fma_f64 v[108:109], v[195:196], s[20:21], v[108:109]
	v_fma_f64 v[106:107], v[223:224], s[28:29], -v[120:121]
	v_fma_f64 v[126:127], v[223:224], s[28:29], v[120:121]
	s_delay_alu instid0(VALU_DEP_4)
	v_add_f64_e32 v[104:105], v[104:105], v[114:115]
	v_fma_f64 v[114:115], v[203:204], s[28:29], -v[112:113]
	v_add_f64_e32 v[108:109], v[108:109], v[171:172]
	v_fma_f64 v[112:113], v[203:204], s[28:29], v[112:113]
	v_add_f64_e32 v[102:103], v[106:107], v[102:103]
	v_fma_f64 v[106:107], v[199:200], s[20:21], v[110:111]
	v_fma_f64 v[110:111], v[199:200], s[20:21], -v[110:111]
	v_add_f64_e32 v[104:105], v[114:115], v[104:105]
	v_mul_f64_e32 v[114:115], s[34:35], v[205:206]
	v_add_f64_e32 v[108:109], v[112:113], v[108:109]
	v_add_f64_e32 v[98:99], v[126:127], v[98:99]
	;; [unrolled: 1-line block ×4, first 2 shown]
	v_fma_f64 v[120:121], v[207:208], s[28:29], v[114:115]
	v_fma_f64 v[112:113], v[207:208], s[28:29], -v[114:115]
	s_delay_alu instid0(VALU_DEP_2) | instskip(SKIP_1) | instid1(VALU_DEP_3)
	v_add_f64_e32 v[106:107], v[120:121], v[106:107]
	v_mul_f64_e32 v[120:121], s[36:37], v[209:210]
	v_add_f64_e32 v[110:111], v[112:113], v[110:111]
	s_delay_alu instid0(VALU_DEP_2) | instskip(SKIP_2) | instid1(VALU_DEP_3)
	v_fma_f64 v[122:123], v[211:212], s[10:11], -v[120:121]
	v_fma_f64 v[112:113], v[211:212], s[10:11], v[120:121]
	v_mul_f64_e32 v[120:121], s[34:35], v[193:194]
	v_add_f64_e32 v[104:105], v[122:123], v[104:105]
	v_mul_f64_e32 v[122:123], s[36:37], v[213:214]
	s_delay_alu instid0(VALU_DEP_4) | instskip(NEXT) | instid1(VALU_DEP_2)
	v_add_f64_e32 v[108:109], v[112:113], v[108:109]
	v_fma_f64 v[126:127], v[215:216], s[10:11], v[122:123]
	v_fma_f64 v[112:113], v[215:216], s[10:11], -v[122:123]
	v_mul_f64_e32 v[122:123], s[34:35], v[197:198]
	s_delay_alu instid0(VALU_DEP_3) | instskip(SKIP_1) | instid1(VALU_DEP_4)
	v_add_f64_e32 v[106:107], v[126:127], v[106:107]
	v_mul_f64_e32 v[126:127], s[30:31], v[217:218]
	v_add_f64_e32 v[110:111], v[112:113], v[110:111]
	s_delay_alu instid0(VALU_DEP_2) | instskip(SKIP_1) | instid1(VALU_DEP_2)
	v_fma_f64 v[112:113], v[219:220], s[8:9], v[126:127]
	v_fma_f64 v[132:133], v[219:220], s[8:9], -v[126:127]
	v_add_f64_e32 v[108:109], v[112:113], v[108:109]
	v_fma_f64 v[112:113], v[195:196], s[28:29], -v[120:121]
	s_delay_alu instid0(VALU_DEP_3) | instskip(SKIP_2) | instid1(VALU_DEP_4)
	v_add_f64_e32 v[104:105], v[132:133], v[104:105]
	v_mul_f64_e32 v[132:133], s[30:31], v[221:222]
	v_fma_f64 v[120:121], v[195:196], s[28:29], v[120:121]
	v_add_f64_e32 v[112:113], v[112:113], v[124:125]
	v_mul_f64_e32 v[124:125], s[16:17], v[201:202]
	s_delay_alu instid0(VALU_DEP_4) | instskip(SKIP_2) | instid1(VALU_DEP_4)
	v_fma_f64 v[114:115], v[223:224], s[8:9], -v[132:133]
	v_fma_f64 v[134:135], v[223:224], s[8:9], v[132:133]
	v_add_f64_e32 v[120:121], v[120:121], v[181:182]
	v_fma_f64 v[126:127], v[203:204], s[2:3], -v[124:125]
	s_delay_alu instid0(VALU_DEP_4)
	v_add_f64_e32 v[110:111], v[114:115], v[110:111]
	v_fma_f64 v[114:115], v[199:200], s[28:29], v[122:123]
	v_add_f64_e32 v[106:107], v[134:135], v[106:107]
	v_fma_f64 v[122:123], v[199:200], s[28:29], -v[122:123]
	v_fma_f64 v[124:125], v[203:204], s[2:3], v[124:125]
	v_add_f64_e32 v[112:113], v[126:127], v[112:113]
	v_mul_f64_e32 v[126:127], s[16:17], v[205:206]
	v_add_f64_e32 v[114:115], v[114:115], v[173:174]
	v_add_f64_e32 v[122:123], v[122:123], v[138:139]
	v_add_f64_e32 v[120:121], v[124:125], v[120:121]
	s_delay_alu instid0(VALU_DEP_4) | instskip(SKIP_1) | instid1(VALU_DEP_2)
	v_fma_f64 v[132:133], v[207:208], s[2:3], v[126:127]
	v_fma_f64 v[124:125], v[207:208], s[2:3], -v[126:127]
	v_add_f64_e32 v[114:115], v[132:133], v[114:115]
	v_mul_f64_e32 v[132:133], s[22:23], v[209:210]
	s_delay_alu instid0(VALU_DEP_3) | instskip(NEXT) | instid1(VALU_DEP_2)
	v_add_f64_e32 v[122:123], v[124:125], v[122:123]
	v_fma_f64 v[134:135], v[211:212], s[8:9], -v[132:133]
	v_fma_f64 v[124:125], v[211:212], s[8:9], v[132:133]
	v_mul_f64_e32 v[132:133], s[36:37], v[193:194]
	s_delay_alu instid0(VALU_DEP_3) | instskip(SKIP_1) | instid1(VALU_DEP_4)
	v_add_f64_e32 v[112:113], v[134:135], v[112:113]
	v_mul_f64_e32 v[134:135], s[22:23], v[213:214]
	v_add_f64_e32 v[120:121], v[124:125], v[120:121]
	s_delay_alu instid0(VALU_DEP_2) | instskip(SKIP_2) | instid1(VALU_DEP_3)
	v_fma_f64 v[136:137], v[215:216], s[8:9], v[134:135]
	v_fma_f64 v[124:125], v[215:216], s[8:9], -v[134:135]
	v_mul_f64_e32 v[134:135], s[36:37], v[197:198]
	v_add_f64_e32 v[114:115], v[136:137], v[114:115]
	v_mul_f64_e32 v[136:137], s[24:25], v[217:218]
	s_delay_alu instid0(VALU_DEP_4) | instskip(NEXT) | instid1(VALU_DEP_2)
	v_add_f64_e32 v[122:123], v[124:125], v[122:123]
	v_fma_f64 v[169:170], v[219:220], s[20:21], -v[136:137]
	v_fma_f64 v[124:125], v[219:220], s[20:21], v[136:137]
	v_mul_f64_e32 v[136:137], s[22:23], v[201:202]
	s_delay_alu instid0(VALU_DEP_3) | instskip(SKIP_1) | instid1(VALU_DEP_4)
	v_add_f64_e32 v[112:113], v[169:170], v[112:113]
	v_mul_f64_e32 v[169:170], s[24:25], v[221:222]
	v_add_f64_e32 v[124:125], v[124:125], v[120:121]
	v_fma_f64 v[120:121], v[195:196], s[10:11], -v[132:133]
	v_fma_f64 v[138:139], v[203:204], s[8:9], -v[136:137]
	v_fma_f64 v[132:133], v[195:196], s[10:11], v[132:133]
	v_fma_f64 v[136:137], v[203:204], s[8:9], v[136:137]
	v_fma_f64 v[126:127], v[223:224], s[20:21], -v[169:170]
	v_fma_f64 v[171:172], v[223:224], s[20:21], v[169:170]
	v_add_f64_e32 v[120:121], v[120:121], v[183:184]
	v_mul_f64_e32 v[183:184], s[18:19], v[221:222]
	v_add_f64_e32 v[132:133], v[132:133], v[185:186]
	v_add_f64_e32 v[126:127], v[126:127], v[122:123]
	v_fma_f64 v[122:123], v[199:200], s[10:11], v[134:135]
	v_add_f64_e32 v[120:121], v[138:139], v[120:121]
	v_mul_f64_e32 v[138:139], s[22:23], v[205:206]
	v_add_f64_e32 v[114:115], v[171:172], v[114:115]
	v_fma_f64 v[134:135], v[199:200], s[10:11], -v[134:135]
	v_add_f64_e32 v[132:133], v[136:137], v[132:133]
	v_add_f64_e32 v[122:123], v[122:123], v[175:176]
	v_fma_f64 v[169:170], v[207:208], s[8:9], v[138:139]
	v_fma_f64 v[136:137], v[207:208], s[8:9], -v[138:139]
	v_add_f64_e32 v[134:135], v[134:135], v[165:166]
	v_mul_f64_e32 v[165:166], s[30:31], v[193:194]
	s_delay_alu instid0(VALU_DEP_4) | instskip(SKIP_1) | instid1(VALU_DEP_4)
	v_add_f64_e32 v[122:123], v[169:170], v[122:123]
	v_mul_f64_e32 v[169:170], s[26:27], v[209:210]
	v_add_f64_e32 v[134:135], v[136:137], v[134:135]
	s_delay_alu instid0(VALU_DEP_4) | instskip(NEXT) | instid1(VALU_DEP_3)
	v_fma_f64 v[116:117], v[195:196], s[8:9], v[165:166]
	v_fma_f64 v[171:172], v[211:212], s[28:29], -v[169:170]
	v_fma_f64 v[136:137], v[211:212], s[28:29], v[169:170]
	v_mul_f64_e32 v[169:170], s[30:31], v[197:198]
	s_delay_alu instid0(VALU_DEP_4) | instskip(NEXT) | instid1(VALU_DEP_4)
	v_add_f64_e32 v[116:117], v[116:117], v[189:190]
	v_add_f64_e32 v[120:121], v[171:172], v[120:121]
	v_mul_f64_e32 v[171:172], s[26:27], v[213:214]
	v_add_f64_e32 v[132:133], v[136:137], v[132:133]
	v_fma_f64 v[118:119], v[199:200], s[8:9], -v[169:170]
	s_delay_alu instid0(VALU_DEP_3) | instskip(SKIP_2) | instid1(VALU_DEP_4)
	v_fma_f64 v[173:174], v[215:216], s[28:29], v[171:172]
	v_fma_f64 v[136:137], v[215:216], s[28:29], -v[171:172]
	v_mul_f64_e32 v[171:172], s[24:25], v[201:202]
	v_add_f64_e32 v[118:119], v[118:119], v[191:192]
	s_delay_alu instid0(VALU_DEP_4) | instskip(SKIP_3) | instid1(VALU_DEP_3)
	v_add_f64_e32 v[122:123], v[173:174], v[122:123]
	v_mul_f64_e32 v[173:174], s[16:17], v[217:218]
	v_add_f64_e32 v[134:135], v[136:137], v[134:135]
	v_fma_f64 v[128:129], v[203:204], s[20:21], v[171:172]
	v_fma_f64 v[175:176], v[219:220], s[2:3], -v[173:174]
	v_fma_f64 v[136:137], v[219:220], s[2:3], v[173:174]
	v_fma_f64 v[173:174], v[203:204], s[20:21], -v[171:172]
	s_delay_alu instid0(VALU_DEP_4) | instskip(NEXT) | instid1(VALU_DEP_4)
	v_add_f64_e32 v[116:117], v[128:129], v[116:117]
	v_add_f64_e32 v[120:121], v[175:176], v[120:121]
	v_mul_f64_e32 v[175:176], s[16:17], v[221:222]
	v_add_f64_e32 v[132:133], v[136:137], v[132:133]
	v_fma_f64 v[136:137], v[195:196], s[8:9], -v[165:166]
	s_delay_alu instid0(VALU_DEP_3) | instskip(SKIP_1) | instid1(VALU_DEP_3)
	v_fma_f64 v[138:139], v[223:224], s[2:3], -v[175:176]
	v_fma_f64 v[181:182], v[223:224], s[2:3], v[175:176]
	v_add_f64_e32 v[136:137], v[136:137], v[187:188]
	s_delay_alu instid0(VALU_DEP_3) | instskip(SKIP_1) | instid1(VALU_DEP_3)
	v_add_f64_e32 v[134:135], v[138:139], v[134:135]
	v_fma_f64 v[138:139], v[199:200], s[8:9], v[169:170]
	v_add_f64_e32 v[136:137], v[173:174], v[136:137]
	v_mul_f64_e32 v[173:174], s[24:25], v[205:206]
	v_add_f64_e32 v[122:123], v[181:182], v[122:123]
	s_delay_alu instid0(VALU_DEP_4) | instskip(NEXT) | instid1(VALU_DEP_3)
	v_add_f64_e32 v[138:139], v[138:139], v[177:178]
	v_fma_f64 v[175:176], v[207:208], s[20:21], v[173:174]
	v_fma_f64 v[130:131], v[207:208], s[20:21], -v[173:174]
	s_delay_alu instid0(VALU_DEP_2) | instskip(SKIP_1) | instid1(VALU_DEP_3)
	v_add_f64_e32 v[138:139], v[175:176], v[138:139]
	v_mul_f64_e32 v[175:176], s[16:17], v[209:210]
	v_add_f64_e32 v[118:119], v[130:131], v[118:119]
	v_fma_f64 v[130:131], v[223:224], s[10:11], -v[183:184]
	s_delay_alu instid0(VALU_DEP_3) | instskip(SKIP_1) | instid1(VALU_DEP_2)
	v_fma_f64 v[177:178], v[211:212], s[2:3], -v[175:176]
	v_fma_f64 v[140:141], v[211:212], s[2:3], v[175:176]
	v_add_f64_e32 v[136:137], v[177:178], v[136:137]
	v_mul_f64_e32 v[177:178], s[16:17], v[213:214]
	s_delay_alu instid0(VALU_DEP_3) | instskip(NEXT) | instid1(VALU_DEP_2)
	v_add_f64_e32 v[116:117], v[140:141], v[116:117]
	v_fma_f64 v[181:182], v[215:216], s[2:3], v[177:178]
	v_fma_f64 v[142:143], v[215:216], s[2:3], -v[177:178]
	s_delay_alu instid0(VALU_DEP_2) | instskip(SKIP_1) | instid1(VALU_DEP_3)
	v_add_f64_e32 v[138:139], v[181:182], v[138:139]
	v_mul_f64_e32 v[181:182], s[18:19], v[217:218]
	v_add_f64_e32 v[118:119], v[142:143], v[118:119]
	s_delay_alu instid0(VALU_DEP_2) | instskip(SKIP_1) | instid1(VALU_DEP_3)
	v_fma_f64 v[185:186], v[219:220], s[10:11], -v[181:182]
	v_fma_f64 v[128:129], v[219:220], s[10:11], v[181:182]
	v_add_f64_e32 v[146:147], v[130:131], v[118:119]
	s_delay_alu instid0(VALU_DEP_3) | instskip(SKIP_1) | instid1(VALU_DEP_4)
	v_add_f64_e32 v[136:137], v[185:186], v[136:137]
	v_fma_f64 v[185:186], v[223:224], s[10:11], v[183:184]
	v_add_f64_e32 v[144:145], v[128:129], v[116:117]
	s_delay_alu instid0(VALU_DEP_2)
	v_add_f64_e32 v[138:139], v[185:186], v[138:139]
	s_and_saveexec_b32 s1, s0
	s_cbranch_execz .LBB0_11
; %bb.10:
	ds_store_b128 v255, v[92:95]
	ds_store_b128 v255, v[96:99] offset:2176
	ds_store_b128 v255, v[104:107] offset:4352
	;; [unrolled: 1-line block ×10, first 2 shown]
.LBB0_11:
	s_wait_alu 0xfffe
	s_or_b32 exec_lo, exec_lo, s1
	global_wb scope:SCOPE_SE
	s_wait_dscnt 0x0
	s_barrier_signal -1
	s_barrier_wait -1
	global_inv scope:SCOPE_SE
	s_and_saveexec_b32 s1, vcc_lo
	s_cbranch_execz .LBB0_13
; %bb.12:
	global_load_b128 v[116:119], v255, s[12:13] offset:23936
	s_add_nc_u64 s[2:3], s[12:13], 0x5d80
	s_clause 0x3
	global_load_b128 v[128:131], v255, s[2:3] offset:1408
	global_load_b128 v[140:143], v255, s[2:3] offset:2816
	;; [unrolled: 1-line block ×4, first 2 shown]
	ds_load_b128 v[157:160], v255
	ds_load_b128 v[161:164], v255 offset:1408
	ds_load_b128 v[165:168], v255 offset:22528
	s_wait_loadcnt_dscnt 0x301
	v_mul_f64_e32 v[173:174], v[163:164], v[130:131]
	v_mul_f64_e32 v[169:170], v[159:160], v[118:119]
	;; [unrolled: 1-line block ×4, first 2 shown]
	s_delay_alu instid0(VALU_DEP_4) | instskip(NEXT) | instid1(VALU_DEP_4)
	v_fma_f64 v[161:162], v[161:162], v[128:129], -v[173:174]
	v_fma_f64 v[157:158], v[157:158], v[116:117], -v[169:170]
	s_delay_alu instid0(VALU_DEP_4)
	v_fma_f64 v[159:160], v[159:160], v[116:117], v[118:119]
	ds_load_b128 v[116:119], v255 offset:2816
	ds_load_b128 v[169:172], v255 offset:4224
	v_fma_f64 v[163:164], v[163:164], v[128:129], v[130:131]
	s_wait_loadcnt_dscnt 0x201
	v_mul_f64_e32 v[128:129], v[118:119], v[142:143]
	v_mul_f64_e32 v[130:131], v[116:117], v[142:143]
	s_wait_loadcnt_dscnt 0x100
	v_mul_f64_e32 v[173:174], v[171:172], v[150:151]
	v_mul_f64_e32 v[150:151], v[169:170], v[150:151]
	s_delay_alu instid0(VALU_DEP_4) | instskip(NEXT) | instid1(VALU_DEP_4)
	v_fma_f64 v[116:117], v[116:117], v[140:141], -v[128:129]
	v_fma_f64 v[118:119], v[118:119], v[140:141], v[130:131]
	ds_load_b128 v[140:143], v255 offset:5632
	global_load_b128 v[128:131], v255, s[2:3] offset:7040
	v_fma_f64 v[169:170], v[169:170], v[148:149], -v[173:174]
	v_fma_f64 v[171:172], v[171:172], v[148:149], v[150:151]
	ds_load_b128 v[148:151], v255 offset:7040
	s_wait_loadcnt_dscnt 0x101
	v_mul_f64_e32 v[173:174], v[142:143], v[154:155]
	v_mul_f64_e32 v[154:155], v[140:141], v[154:155]
	s_delay_alu instid0(VALU_DEP_2) | instskip(NEXT) | instid1(VALU_DEP_2)
	v_fma_f64 v[140:141], v[140:141], v[152:153], -v[173:174]
	v_fma_f64 v[142:143], v[142:143], v[152:153], v[154:155]
	global_load_b128 v[152:155], v255, s[2:3] offset:8448
	s_wait_loadcnt_dscnt 0x100
	v_mul_f64_e32 v[173:174], v[150:151], v[130:131]
	v_mul_f64_e32 v[130:131], v[148:149], v[130:131]
	s_delay_alu instid0(VALU_DEP_2) | instskip(NEXT) | instid1(VALU_DEP_2)
	v_fma_f64 v[148:149], v[148:149], v[128:129], -v[173:174]
	v_fma_f64 v[150:151], v[150:151], v[128:129], v[130:131]
	ds_load_b128 v[128:131], v255 offset:8448
	ds_load_b128 v[173:176], v255 offset:9856
	s_wait_loadcnt_dscnt 0x1
	v_mul_f64_e32 v[177:178], v[130:131], v[154:155]
	v_mul_f64_e32 v[154:155], v[128:129], v[154:155]
	s_delay_alu instid0(VALU_DEP_2) | instskip(NEXT) | instid1(VALU_DEP_2)
	v_fma_f64 v[128:129], v[128:129], v[152:153], -v[177:178]
	v_fma_f64 v[130:131], v[130:131], v[152:153], v[154:155]
	s_clause 0x1
	global_load_b128 v[152:155], v255, s[2:3] offset:9856
	global_load_b128 v[177:180], v255, s[2:3] offset:11264
	s_wait_loadcnt_dscnt 0x100
	v_mul_f64_e32 v[181:182], v[175:176], v[154:155]
	v_mul_f64_e32 v[154:155], v[173:174], v[154:155]
	s_delay_alu instid0(VALU_DEP_2) | instskip(NEXT) | instid1(VALU_DEP_2)
	v_fma_f64 v[173:174], v[173:174], v[152:153], -v[181:182]
	v_fma_f64 v[175:176], v[175:176], v[152:153], v[154:155]
	ds_load_b128 v[152:155], v255 offset:11264
	ds_load_b128 v[181:184], v255 offset:12672
	s_wait_loadcnt_dscnt 0x1
	v_mul_f64_e32 v[185:186], v[154:155], v[179:180]
	v_mul_f64_e32 v[179:180], v[152:153], v[179:180]
	s_delay_alu instid0(VALU_DEP_2) | instskip(NEXT) | instid1(VALU_DEP_2)
	v_fma_f64 v[152:153], v[152:153], v[177:178], -v[185:186]
	v_fma_f64 v[154:155], v[154:155], v[177:178], v[179:180]
	s_clause 0x1
	global_load_b128 v[177:180], v255, s[2:3] offset:12672
	;; [unrolled: 17-line block ×4, first 2 shown]
	global_load_b128 v[205:208], v255, s[2:3] offset:19712
	ds_load_b128 v[209:212], v255 offset:19712
	ds_load_b128 v[213:216], v255 offset:21120
	s_wait_loadcnt_dscnt 0x102
	v_mul_f64_e32 v[177:178], v[203:204], v[199:200]
	v_mul_f64_e32 v[187:188], v[201:202], v[199:200]
	s_delay_alu instid0(VALU_DEP_2) | instskip(SKIP_2) | instid1(VALU_DEP_3)
	v_fma_f64 v[199:200], v[201:202], v[197:198], -v[177:178]
	s_wait_loadcnt_dscnt 0x1
	v_mul_f64_e32 v[177:178], v[211:212], v[207:208]
	v_fma_f64 v[201:202], v[203:204], v[197:198], v[187:188]
	v_mul_f64_e32 v[187:188], v[209:210], v[207:208]
	s_delay_alu instid0(VALU_DEP_3)
	v_fma_f64 v[203:204], v[209:210], v[205:206], -v[177:178]
	s_clause 0x1
	global_load_b128 v[207:210], v255, s[2:3] offset:21120
	global_load_b128 v[217:220], v255, s[2:3] offset:22528
	v_fma_f64 v[205:206], v[211:212], v[205:206], v[187:188]
	s_wait_loadcnt_dscnt 0x100
	v_mul_f64_e32 v[177:178], v[215:216], v[209:210]
	v_mul_f64_e32 v[187:188], v[213:214], v[209:210]
	s_delay_alu instid0(VALU_DEP_2) | instskip(NEXT) | instid1(VALU_DEP_2)
	v_fma_f64 v[209:210], v[213:214], v[207:208], -v[177:178]
	v_fma_f64 v[211:212], v[215:216], v[207:208], v[187:188]
	s_wait_loadcnt 0x0
	v_mul_f64_e32 v[177:178], v[167:168], v[219:220]
	v_mul_f64_e32 v[187:188], v[165:166], v[219:220]
	s_delay_alu instid0(VALU_DEP_2) | instskip(NEXT) | instid1(VALU_DEP_2)
	v_fma_f64 v[165:166], v[165:166], v[217:218], -v[177:178]
	v_fma_f64 v[167:168], v[167:168], v[217:218], v[187:188]
	ds_store_b128 v255, v[157:160]
	ds_store_b128 v255, v[161:164] offset:1408
	ds_store_b128 v255, v[116:119] offset:2816
	;; [unrolled: 1-line block ×16, first 2 shown]
.LBB0_13:
	s_wait_alu 0xfffe
	s_or_b32 exec_lo, exec_lo, s1
	global_wb scope:SCOPE_SE
	s_wait_dscnt 0x0
	s_barrier_signal -1
	s_barrier_wait -1
	global_inv scope:SCOPE_SE
	s_and_saveexec_b32 s1, vcc_lo
	s_cbranch_execz .LBB0_15
; %bb.14:
	ds_load_b128 v[92:95], v255
	ds_load_b128 v[96:99], v255 offset:1408
	ds_load_b128 v[104:107], v255 offset:2816
	ds_load_b128 v[112:115], v255 offset:4224
	ds_load_b128 v[120:123], v255 offset:5632
	ds_load_b128 v[136:139], v255 offset:7040
	ds_load_b128 v[144:147], v255 offset:8448
	ds_load_b128 v[132:135], v255 offset:9856
	ds_load_b128 v[124:127], v255 offset:11264
	ds_load_b128 v[108:111], v255 offset:12672
	ds_load_b128 v[100:103], v255 offset:14080
	ds_load_b128 v[20:23], v255 offset:15488
	ds_load_b128 v[16:19], v255 offset:16896
	ds_load_b128 v[12:15], v255 offset:18304
	ds_load_b128 v[8:11], v255 offset:19712
	ds_load_b128 v[4:7], v255 offset:21120
	ds_load_b128 v[0:3], v255 offset:22528
.LBB0_15:
	s_wait_alu 0xfffe
	s_or_b32 exec_lo, exec_lo, s1
	s_wait_dscnt 0x0
	v_add_f64_e64 v[207:208], v[98:99], -v[2:3]
	s_mov_b32 s8, 0x4363dd80
	s_mov_b32 s9, 0xbfe0d888
	v_add_f64_e32 v[205:206], v[0:1], v[96:97]
	v_add_f64_e64 v[150:151], v[106:107], -v[6:7]
	s_mov_b32 s2, 0x910ea3b9
	s_mov_b32 s16, 0x7c9e640b
	;; [unrolled: 1-line block ×4, first 2 shown]
	v_add_f64_e32 v[148:149], v[104:105], v[4:5]
	v_add_f64_e32 v[152:153], v[106:107], v[6:7]
	s_mov_b32 s10, 0x2b2883cd
	s_mov_b32 s11, 0x3fdc86fa
	v_add_f64_e32 v[217:218], v[2:3], v[98:99]
	v_add_f64_e64 v[223:224], v[96:97], -v[0:1]
	v_add_f64_e64 v[159:160], v[104:105], -v[4:5]
	;; [unrolled: 1-line block ×3, first 2 shown]
	s_mov_b32 s20, 0xeb564b22
	s_mov_b32 s21, 0xbfefdd0d
	v_add_f64_e32 v[154:155], v[8:9], v[112:113]
	s_mov_b32 s18, 0x3259b75e
	s_mov_b32 s19, 0x3fb79ee6
	v_add_f64_e32 v[161:162], v[10:11], v[114:115]
	v_add_f64_e64 v[167:168], v[112:113], -v[8:9]
	v_add_f64_e64 v[165:166], v[122:123], -v[14:15]
	s_mov_b32 s42, 0x6c9a05f6
	s_mov_b32 s43, 0x3fe9895b
	v_add_f64_e32 v[163:164], v[12:13], v[120:121]
	s_mov_b32 s22, 0x6ed5f1bb
	s_mov_b32 s23, 0xbfe348c8
	v_add_f64_e32 v[169:170], v[14:15], v[122:123]
	v_add_f64_e64 v[175:176], v[120:121], -v[12:13]
	v_add_f64_e64 v[173:174], v[138:139], -v[18:19]
	s_mov_b32 s30, 0x5d8e7cdc
	s_mov_b32 s31, 0x3fd71e95
	;; [unrolled: 1-line block ×3, first 2 shown]
	s_wait_alu 0xfffe
	s_mov_b32 s40, s30
	v_add_f64_e32 v[171:172], v[136:137], v[16:17]
	v_mul_f64_e32 v[116:117], s[8:9], v[207:208]
	s_mov_b32 s26, 0x370991
	s_mov_b32 s27, 0x3fedd6d0
	v_add_f64_e32 v[177:178], v[138:139], v[18:19]
	v_mul_f64_e32 v[118:119], s[16:17], v[150:151]
	v_add_f64_e64 v[183:184], v[136:137], -v[16:17]
	v_add_f64_e64 v[181:182], v[146:147], -v[22:23]
	s_mov_b32 s28, 0xacd6c6b4
	s_mov_b32 s29, 0xbfc7851a
	v_add_f64_e32 v[179:180], v[20:21], v[144:145]
	v_mul_f64_e32 v[128:129], s[10:11], v[152:153]
	v_add_f64_e32 v[185:186], v[22:23], v[146:147]
	s_mov_b32 s24, 0x7faef3
	s_mov_b32 s25, 0xbfef7484
	v_add_f64_e64 v[197:198], v[144:145], -v[20:21]
	v_add_f64_e64 v[193:194], v[134:135], -v[102:103]
	s_mov_b32 s52, 0x2a9d6da3
	s_mov_b32 s53, 0x3fe58eea
	v_add_f64_e32 v[187:188], v[132:133], v[100:101]
	v_add_f64_e32 v[189:190], v[134:135], v[102:103]
	s_mov_b32 s34, 0x75d4884
	s_mov_b32 s35, 0x3fe7a5f6
	v_add_f64_e64 v[201:202], v[132:133], -v[100:101]
	v_add_f64_e64 v[199:200], v[126:127], -v[110:111]
	s_mov_b32 s38, 0x923c349f
	s_mov_b32 s39, 0xbfeec746
	v_add_f64_e32 v[191:192], v[124:125], v[108:109]
	v_add_f64_e32 v[195:196], v[126:127], v[110:111]
	s_mov_b32 s36, 0xc61f0d01
	s_mov_b32 s37, 0xbfd183b1
	v_add_f64_e64 v[203:204], v[124:125], -v[108:109]
	s_wait_alu 0xfffe
	v_mul_f64_e32 v[140:141], s[28:29], v[207:208]
	v_mul_f64_e32 v[142:143], s[30:31], v[150:151]
	;; [unrolled: 1-line block ×3, first 2 shown]
	s_mov_b32 s57, 0x3fc7851a
	s_mov_b32 s56, s28
	v_mul_f64_e32 v[248:249], s[26:27], v[152:153]
	s_mov_b32 s50, s8
	scratch_store_b64 off, v[116:117], off offset:12 ; 8-byte Folded Spill
	v_fma_f64 v[116:117], v[205:206], s[2:3], -v[116:117]
	s_mov_b32 s47, 0xbfe58eea
	s_mov_b32 s46, s52
	scratch_store_b64 off, v[118:119], off offset:20 ; 8-byte Folded Spill
	v_fma_f64 v[118:119], v[148:149], s[10:11], -v[118:119]
	s_mov_b32 s45, 0xbfe9895b
	s_mov_b32 s44, s42
	;; [unrolled: 1-line block ×4, first 2 shown]
	scratch_store_b64 off, v[128:129], off offset:28 ; 8-byte Folded Spill
	v_fma_f64 v[128:129], v[159:160], s[16:17], v[128:129]
	v_mul_f64_e32 v[239:240], s[24:25], v[185:186]
	s_mov_b32 s55, 0x3feec746
	s_mov_b32 s54, s38
	v_mul_f64_e32 v[235:236], s[52:53], v[193:194]
	s_mov_b32 s59, 0x3fefdd0d
	s_mov_b32 s58, s20
	v_mul_f64_e32 v[241:242], s[34:35], v[189:190]
	v_mul_f64_e32 v[237:238], s[38:39], v[199:200]
	;; [unrolled: 1-line block ×3, first 2 shown]
	v_fma_f64 v[130:131], v[148:149], s[26:27], v[142:143]
	v_fma_f64 v[142:143], v[148:149], s[26:27], -v[142:143]
	v_fma_f64 v[250:251], v[159:160], s[40:41], v[248:249]
	v_add_f64_e32 v[116:117], v[92:93], v[116:117]
	s_delay_alu instid0(VALU_DEP_1) | instskip(SKIP_3) | instid1(VALU_DEP_1)
	v_add_f64_e32 v[116:117], v[118:119], v[116:117]
	v_mul_f64_e32 v[118:119], s[2:3], v[217:218]
	scratch_store_b64 off, v[118:119], off offset:60 ; 8-byte Folded Spill
	v_fma_f64 v[118:119], v[223:224], s[8:9], v[118:119]
	v_add_f64_e32 v[118:119], v[94:95], v[118:119]
	s_delay_alu instid0(VALU_DEP_1) | instskip(SKIP_3) | instid1(VALU_DEP_1)
	v_add_f64_e32 v[118:119], v[128:129], v[118:119]
	v_mul_f64_e32 v[128:129], s[20:21], v[157:158]
	scratch_store_b64 off, v[128:129], off offset:36 ; 8-byte Folded Spill
	v_fma_f64 v[128:129], v[154:155], s[18:19], -v[128:129]
	v_add_f64_e32 v[116:117], v[128:129], v[116:117]
	v_mul_f64_e32 v[128:129], s[18:19], v[161:162]
	scratch_store_b64 off, v[128:129], off offset:52 ; 8-byte Folded Spill
	v_fma_f64 v[128:129], v[167:168], s[20:21], v[128:129]
	s_delay_alu instid0(VALU_DEP_1) | instskip(SKIP_3) | instid1(VALU_DEP_1)
	v_add_f64_e32 v[118:119], v[128:129], v[118:119]
	v_mul_f64_e32 v[128:129], s[42:43], v[165:166]
	scratch_store_b64 off, v[128:129], off offset:44 ; 8-byte Folded Spill
	v_fma_f64 v[128:129], v[163:164], s[22:23], -v[128:129]
	v_add_f64_e32 v[116:117], v[128:129], v[116:117]
	v_mul_f64_e32 v[128:129], s[22:23], v[169:170]
	scratch_store_b64 off, v[128:129], off offset:76 ; 8-byte Folded Spill
	v_fma_f64 v[128:129], v[175:176], s[42:43], v[128:129]
	;; [unrolled: 9-line block ×3, first 2 shown]
	s_delay_alu instid0(VALU_DEP_1)
	v_add_f64_e32 v[118:119], v[128:129], v[118:119]
	v_mul_f64_e32 v[128:129], s[28:29], v[181:182]
	scratch_store_b64 off, v[128:129], off offset:84 ; 8-byte Folded Spill
	v_fma_f64 v[128:129], v[179:180], s[24:25], -v[128:129]
	global_wb scope:SCOPE_SE
	s_wait_storecnt 0x0
	s_barrier_signal -1
	s_barrier_wait -1
	global_inv scope:SCOPE_SE
	v_add_f64_e32 v[116:117], v[128:129], v[116:117]
	v_fma_f64 v[128:129], v[197:198], s[28:29], v[239:240]
	s_delay_alu instid0(VALU_DEP_1) | instskip(SKIP_1) | instid1(VALU_DEP_1)
	v_add_f64_e32 v[118:119], v[128:129], v[118:119]
	v_fma_f64 v[128:129], v[187:188], s[34:35], -v[235:236]
	v_add_f64_e32 v[116:117], v[128:129], v[116:117]
	v_fma_f64 v[128:129], v[201:202], s[52:53], v[241:242]
	s_delay_alu instid0(VALU_DEP_1) | instskip(SKIP_1) | instid1(VALU_DEP_1)
	v_add_f64_e32 v[118:119], v[128:129], v[118:119]
	v_fma_f64 v[128:129], v[191:192], s[36:37], -v[237:238]
	v_add_f64_e32 v[116:117], v[128:129], v[116:117]
	v_fma_f64 v[128:129], v[203:204], s[38:39], v[243:244]
	s_delay_alu instid0(VALU_DEP_1) | instskip(SKIP_2) | instid1(VALU_DEP_2)
	v_add_f64_e32 v[118:119], v[128:129], v[118:119]
	v_fma_f64 v[128:129], v[205:206], s[24:25], v[140:141]
	v_fma_f64 v[140:141], v[205:206], s[24:25], -v[140:141]
	v_add_f64_e32 v[128:129], v[92:93], v[128:129]
	s_delay_alu instid0(VALU_DEP_2) | instskip(NEXT) | instid1(VALU_DEP_2)
	v_add_f64_e32 v[140:141], v[92:93], v[140:141]
	v_add_f64_e32 v[128:129], v[130:131], v[128:129]
	v_fma_f64 v[130:131], v[223:224], s[56:57], v[246:247]
	s_delay_alu instid0(VALU_DEP_3) | instskip(SKIP_1) | instid1(VALU_DEP_3)
	v_add_f64_e32 v[140:141], v[142:143], v[140:141]
	v_fma_f64 v[142:143], v[223:224], s[28:29], v[246:247]
	v_add_f64_e32 v[130:131], v[94:95], v[130:131]
	s_delay_alu instid0(VALU_DEP_2) | instskip(NEXT) | instid1(VALU_DEP_2)
	v_add_f64_e32 v[142:143], v[94:95], v[142:143]
	v_add_f64_e32 v[130:131], v[250:251], v[130:131]
	v_mul_f64_e32 v[250:251], s[8:9], v[157:158]
	s_delay_alu instid0(VALU_DEP_1) | instskip(NEXT) | instid1(VALU_DEP_1)
	v_fma_f64 v[252:253], v[154:155], s[2:3], v[250:251]
	v_add_f64_e32 v[128:129], v[252:253], v[128:129]
	v_mul_f64_e32 v[252:253], s[2:3], v[161:162]
	s_wait_alu 0xfffe
	s_delay_alu instid0(VALU_DEP_1) | instskip(NEXT) | instid1(VALU_DEP_1)
	v_fma_f64 v[209:210], v[167:168], s[50:51], v[252:253]
	v_add_f64_e32 v[130:131], v[209:210], v[130:131]
	v_mul_f64_e32 v[209:210], s[52:53], v[165:166]
	s_delay_alu instid0(VALU_DEP_1) | instskip(SKIP_1) | instid1(VALU_DEP_2)
	v_fma_f64 v[211:212], v[163:164], s[34:35], v[209:210]
	v_fma_f64 v[209:210], v[163:164], s[34:35], -v[209:210]
	v_add_f64_e32 v[128:129], v[211:212], v[128:129]
	v_mul_f64_e32 v[211:212], s[34:35], v[169:170]
	s_delay_alu instid0(VALU_DEP_1) | instskip(NEXT) | instid1(VALU_DEP_1)
	v_fma_f64 v[213:214], v[175:176], s[46:47], v[211:212]
	v_add_f64_e32 v[130:131], v[213:214], v[130:131]
	v_mul_f64_e32 v[213:214], s[44:45], v[173:174]
	s_delay_alu instid0(VALU_DEP_1) | instskip(NEXT) | instid1(VALU_DEP_1)
	v_fma_f64 v[215:216], v[171:172], s[22:23], v[213:214]
	;; [unrolled: 4-line block ×9, first 2 shown]
	v_add_f64_e32 v[130:131], v[233:234], v[130:131]
	v_fma_f64 v[233:234], v[159:160], s[30:31], v[248:249]
	s_delay_alu instid0(VALU_DEP_1) | instskip(SKIP_1) | instid1(VALU_DEP_1)
	v_add_f64_e32 v[142:143], v[233:234], v[142:143]
	v_fma_f64 v[233:234], v[154:155], s[2:3], -v[250:251]
	v_add_f64_e32 v[140:141], v[233:234], v[140:141]
	v_fma_f64 v[233:234], v[167:168], s[8:9], v[252:253]
	s_delay_alu instid0(VALU_DEP_2) | instskip(NEXT) | instid1(VALU_DEP_2)
	v_add_f64_e32 v[140:141], v[209:210], v[140:141]
	v_add_f64_e32 v[142:143], v[233:234], v[142:143]
	v_fma_f64 v[209:210], v[175:176], s[52:53], v[211:212]
	v_fma_f64 v[211:212], v[203:204], s[58:59], v[231:232]
	s_delay_alu instid0(VALU_DEP_2) | instskip(SKIP_1) | instid1(VALU_DEP_1)
	v_add_f64_e32 v[142:143], v[209:210], v[142:143]
	v_fma_f64 v[209:210], v[171:172], s[22:23], -v[213:214]
	v_add_f64_e32 v[140:141], v[209:210], v[140:141]
	v_fma_f64 v[209:210], v[183:184], s[44:45], v[215:216]
	s_delay_alu instid0(VALU_DEP_1) | instskip(SKIP_1) | instid1(VALU_DEP_1)
	v_add_f64_e32 v[142:143], v[209:210], v[142:143]
	v_fma_f64 v[209:210], v[179:180], s[10:11], -v[219:220]
	v_add_f64_e32 v[140:141], v[209:210], v[140:141]
	v_fma_f64 v[209:210], v[197:198], s[16:17], v[221:222]
	s_delay_alu instid0(VALU_DEP_1) | instskip(SKIP_1) | instid1(VALU_DEP_1)
	v_add_f64_e32 v[142:143], v[209:210], v[142:143]
	v_fma_f64 v[209:210], v[187:188], s[36:37], -v[225:226]
	v_add_f64_e32 v[140:141], v[209:210], v[140:141]
	v_fma_f64 v[209:210], v[201:202], s[38:39], v[227:228]
	s_delay_alu instid0(VALU_DEP_1) | instskip(SKIP_1) | instid1(VALU_DEP_2)
	v_add_f64_e32 v[142:143], v[209:210], v[142:143]
	v_fma_f64 v[209:210], v[191:192], s[18:19], -v[229:230]
	v_add_f64_e32 v[142:143], v[211:212], v[142:143]
	s_delay_alu instid0(VALU_DEP_2)
	v_add_f64_e32 v[140:141], v[209:210], v[140:141]
	s_and_saveexec_b32 s1, vcc_lo
	s_cbranch_execz .LBB0_17
; %bb.16:
	v_add_f64_e32 v[98:99], v[94:95], v[98:99]
	v_add_f64_e32 v[96:97], v[92:93], v[96:97]
	v_mul_f64_e32 v[219:220], s[16:17], v[203:204]
	v_mul_f64_e32 v[221:222], s[16:17], v[199:200]
	s_delay_alu instid0(VALU_DEP_4) | instskip(NEXT) | instid1(VALU_DEP_4)
	v_add_f64_e32 v[98:99], v[106:107], v[98:99]
	v_add_f64_e32 v[96:97], v[104:105], v[96:97]
	v_mul_f64_e32 v[104:105], s[44:45], v[207:208]
	v_mul_f64_e32 v[106:107], s[38:39], v[207:208]
	s_delay_alu instid0(VALU_DEP_4) | instskip(NEXT) | instid1(VALU_DEP_4)
	v_add_f64_e32 v[98:99], v[114:115], v[98:99]
	v_add_f64_e32 v[96:97], v[112:113], v[96:97]
	v_mul_f64_e32 v[112:113], s[46:47], v[207:208]
	v_mul_f64_e32 v[114:115], s[40:41], v[207:208]
	s_delay_alu instid0(VALU_DEP_4) | instskip(NEXT) | instid1(VALU_DEP_4)
	v_add_f64_e32 v[98:99], v[122:123], v[98:99]
	v_add_f64_e32 v[96:97], v[120:121], v[96:97]
	v_fma_f64 v[120:121], v[205:206], s[22:23], -v[104:105]
	v_fma_f64 v[104:105], v[205:206], s[22:23], v[104:105]
	v_fma_f64 v[122:123], v[205:206], s[36:37], -v[106:107]
	v_fma_f64 v[106:107], v[205:206], s[36:37], v[106:107]
	v_add_f64_e32 v[98:99], v[138:139], v[98:99]
	v_add_f64_e32 v[96:97], v[136:137], v[96:97]
	;; [unrolled: 1-line block ×8, first 2 shown]
	s_delay_alu instid0(VALU_DEP_2) | instskip(NEXT) | instid1(VALU_DEP_2)
	v_add_f64_e32 v[98:99], v[134:135], v[98:99]
	v_add_f64_e32 v[96:97], v[132:133], v[96:97]
	v_fma_f64 v[132:133], v[205:206], s[34:35], -v[112:113]
	v_fma_f64 v[112:113], v[205:206], s[34:35], v[112:113]
	v_fma_f64 v[134:135], v[205:206], s[26:27], -v[114:115]
	v_fma_f64 v[114:115], v[205:206], s[26:27], v[114:115]
	v_add_f64_e32 v[98:99], v[126:127], v[98:99]
	v_add_f64_e32 v[96:97], v[124:125], v[96:97]
	;; [unrolled: 1-line block ×8, first 2 shown]
	v_mul_f64_e32 v[108:109], s[20:21], v[207:208]
	v_mul_f64_e32 v[110:111], s[48:49], v[207:208]
	s_delay_alu instid0(VALU_DEP_4) | instskip(NEXT) | instid1(VALU_DEP_4)
	v_add_f64_e32 v[98:99], v[102:103], v[98:99]
	v_add_f64_e32 v[96:97], v[100:101], v[96:97]
	s_delay_alu instid0(VALU_DEP_4)
	v_fma_f64 v[124:125], v[205:206], s[18:19], -v[108:109]
	v_fma_f64 v[108:109], v[205:206], s[18:19], v[108:109]
	v_fma_f64 v[126:127], v[205:206], s[10:11], -v[110:111]
	v_fma_f64 v[110:111], v[205:206], s[10:11], v[110:111]
	v_add_f64_e32 v[22:23], v[22:23], v[98:99]
	v_add_f64_e32 v[20:21], v[20:21], v[96:97]
	;; [unrolled: 1-line block ×8, first 2 shown]
	s_delay_alu instid0(VALU_DEP_2) | instskip(NEXT) | instid1(VALU_DEP_2)
	v_add_f64_e32 v[14:15], v[14:15], v[18:19]
	v_add_f64_e32 v[12:13], v[12:13], v[16:17]
	v_mul_f64_e32 v[16:17], s[46:47], v[223:224]
	v_mul_f64_e32 v[18:19], s[40:41], v[223:224]
	s_delay_alu instid0(VALU_DEP_4) | instskip(NEXT) | instid1(VALU_DEP_4)
	v_add_f64_e32 v[10:11], v[10:11], v[14:15]
	v_add_f64_e32 v[8:9], v[8:9], v[12:13]
	v_mul_f64_e32 v[14:15], s[48:49], v[223:224]
	v_fma_f64 v[100:101], v[217:218], s[34:35], v[16:17]
	v_fma_f64 v[16:17], v[217:218], s[34:35], -v[16:17]
	v_fma_f64 v[102:103], v[217:218], s[26:27], v[18:19]
	v_fma_f64 v[18:19], v[217:218], s[26:27], -v[18:19]
	v_mul_f64_e32 v[12:13], s[20:21], v[223:224]
	v_add_f64_e32 v[6:7], v[6:7], v[10:11]
	v_add_f64_e32 v[4:5], v[4:5], v[8:9]
	scratch_load_b64 v[8:9], off, off offset:12 th:TH_LOAD_LU ; 8-byte Folded Reload
	v_fma_f64 v[98:99], v[217:218], s[10:11], v[14:15]
	v_add_f64_e32 v[207:208], v[94:95], v[100:101]
	v_add_f64_e32 v[209:210], v[94:95], v[16:17]
	scratch_load_b64 v[16:17], off, off offset:92 th:TH_LOAD_LU ; 8-byte Folded Reload
	v_mul_f64_e32 v[10:11], s[38:39], v[223:224]
	v_add_f64_e32 v[213:214], v[94:95], v[18:19]
	scratch_load_b64 v[18:19], off, off offset:76 th:TH_LOAD_LU ; 8-byte Folded Reload
	v_fma_f64 v[96:97], v[217:218], s[18:19], v[12:13]
	v_fma_f64 v[12:13], v[217:218], s[18:19], -v[12:13]
	v_fma_f64 v[14:15], v[217:218], s[10:11], -v[14:15]
	v_add_f64_e32 v[211:212], v[94:95], v[102:103]
	scratch_load_b64 v[100:101], off, off offset:36 th:TH_LOAD_LU ; 8-byte Folded Reload
	v_add_f64_e32 v[2:3], v[2:3], v[6:7]
	scratch_load_b64 v[6:7], off, off offset:60 th:TH_LOAD_LU ; 8-byte Folded Reload
	v_add_f64_e32 v[0:1], v[0:1], v[4:5]
	v_mul_f64_e32 v[4:5], s[8:9], v[223:224]
	v_add_f64_e32 v[146:147], v[94:95], v[98:99]
	scratch_load_b64 v[98:99], off, off offset:20 th:TH_LOAD_LU ; 8-byte Folded Reload
	v_fma_f64 v[22:23], v[217:218], s[36:37], v[10:11]
	v_fma_f64 v[10:11], v[217:218], s[36:37], -v[10:11]
	v_add_f64_e32 v[96:97], v[94:95], v[96:97]
	v_add_f64_e32 v[144:145], v[94:95], v[12:13]
	v_mul_f64_e32 v[12:13], s[28:29], v[197:198]
	v_add_f64_e32 v[22:23], v[94:95], v[22:23]
	v_add_f64_e32 v[138:139], v[94:95], v[10:11]
	v_mul_f64_e32 v[10:11], s[52:53], v[201:202]
	s_delay_alu instid0(VALU_DEP_4) | instskip(NEXT) | instid1(VALU_DEP_2)
	v_add_f64_e64 v[12:13], v[239:240], -v[12:13]
	v_add_f64_e64 v[10:11], v[241:242], -v[10:11]
	s_wait_loadcnt 0x1
	v_add_f64_e64 v[4:5], v[6:7], -v[4:5]
	v_mul_f64_e32 v[6:7], s[2:3], v[205:206]
	v_add_f64_e32 v[205:206], v[94:95], v[14:15]
	v_mul_f64_e32 v[14:15], s[40:41], v[183:184]
	s_delay_alu instid0(VALU_DEP_4) | instskip(NEXT) | instid1(VALU_DEP_4)
	v_add_f64_e32 v[4:5], v[94:95], v[4:5]
	v_add_f64_e32 v[6:7], v[6:7], v[8:9]
	v_mul_f64_e32 v[8:9], s[44:45], v[223:224]
	s_delay_alu instid0(VALU_DEP_4) | instskip(SKIP_1) | instid1(VALU_DEP_4)
	v_add_f64_e64 v[14:15], v[16:17], -v[14:15]
	v_mul_f64_e32 v[16:17], s[42:43], v[175:176]
	v_add_f64_e32 v[6:7], v[92:93], v[6:7]
	s_delay_alu instid0(VALU_DEP_4)
	v_fma_f64 v[20:21], v[217:218], s[22:23], v[8:9]
	v_fma_f64 v[8:9], v[217:218], s[22:23], -v[8:9]
	scratch_load_b64 v[92:93], off, off offset:52 th:TH_LOAD_LU ; 8-byte Folded Reload
	v_add_f64_e64 v[16:17], v[18:19], -v[16:17]
	v_mul_f64_e32 v[18:19], s[20:21], v[167:168]
	v_add_f64_e32 v[20:21], v[94:95], v[20:21]
	v_add_f64_e32 v[136:137], v[94:95], v[8:9]
	scratch_load_b64 v[94:95], off, off offset:28 th:TH_LOAD_LU ; 8-byte Folded Reload
	v_mul_f64_e32 v[8:9], s[38:39], v[203:204]
	s_delay_alu instid0(VALU_DEP_1) | instskip(SKIP_4) | instid1(VALU_DEP_1)
	v_add_f64_e64 v[8:9], v[243:244], -v[8:9]
	s_wait_loadcnt 0x1
	v_add_f64_e64 v[18:19], v[92:93], -v[18:19]
	v_mul_f64_e32 v[92:93], s[16:17], v[159:160]
	s_wait_loadcnt 0x0
	v_add_f64_e64 v[92:93], v[94:95], -v[92:93]
	v_mul_f64_e32 v[94:95], s[10:11], v[148:149]
	s_delay_alu instid0(VALU_DEP_2) | instskip(NEXT) | instid1(VALU_DEP_2)
	v_add_f64_e32 v[4:5], v[92:93], v[4:5]
	v_add_f64_e32 v[94:95], v[94:95], v[98:99]
	v_mul_f64_e32 v[98:99], s[18:19], v[154:155]
	v_mul_f64_e32 v[92:93], s[22:23], v[163:164]
	s_delay_alu instid0(VALU_DEP_4) | instskip(NEXT) | instid1(VALU_DEP_4)
	v_add_f64_e32 v[4:5], v[18:19], v[4:5]
	v_add_f64_e32 v[6:7], v[94:95], v[6:7]
	scratch_load_b64 v[94:95], off, off offset:44 th:TH_LOAD_LU ; 8-byte Folded Reload
	v_add_f64_e32 v[98:99], v[98:99], v[100:101]
	v_mul_f64_e32 v[18:19], s[26:27], v[171:172]
	v_add_f64_e32 v[4:5], v[16:17], v[4:5]
	v_mul_f64_e32 v[16:17], s[24:25], v[179:180]
	s_delay_alu instid0(VALU_DEP_4) | instskip(NEXT) | instid1(VALU_DEP_3)
	v_add_f64_e32 v[6:7], v[98:99], v[6:7]
	v_add_f64_e32 v[4:5], v[14:15], v[4:5]
	v_mul_f64_e32 v[14:15], s[34:35], v[187:188]
	s_delay_alu instid0(VALU_DEP_2) | instskip(NEXT) | instid1(VALU_DEP_2)
	v_add_f64_e32 v[4:5], v[12:13], v[4:5]
	v_add_f64_e32 v[14:15], v[14:15], v[235:236]
	v_mul_f64_e32 v[12:13], s[36:37], v[191:192]
	s_delay_alu instid0(VALU_DEP_3) | instskip(NEXT) | instid1(VALU_DEP_2)
	v_add_f64_e32 v[4:5], v[10:11], v[4:5]
	v_add_f64_e32 v[12:13], v[12:13], v[237:238]
	s_wait_loadcnt 0x0
	v_add_f64_e32 v[92:93], v[92:93], v[94:95]
	scratch_load_b64 v[94:95], off, off offset:68 th:TH_LOAD_LU ; 8-byte Folded Reload
	v_add_f64_e32 v[6:7], v[92:93], v[6:7]
	scratch_load_b64 v[92:93], off, off offset:84 th:TH_LOAD_LU ; 8-byte Folded Reload
	s_wait_loadcnt 0x1
	v_add_f64_e32 v[18:19], v[18:19], v[94:95]
	s_wait_loadcnt 0x0
	v_add_f64_e32 v[16:17], v[16:17], v[92:93]
	s_delay_alu instid0(VALU_DEP_2) | instskip(NEXT) | instid1(VALU_DEP_1)
	v_add_f64_e32 v[6:7], v[18:19], v[6:7]
	v_add_f64_e32 v[6:7], v[16:17], v[6:7]
	v_mul_f64_e32 v[16:17], s[40:41], v[167:168]
	s_delay_alu instid0(VALU_DEP_2) | instskip(SKIP_2) | instid1(VALU_DEP_4)
	v_add_f64_e32 v[10:11], v[14:15], v[6:7]
	v_add_f64_e32 v[6:7], v[8:9], v[4:5]
	v_mul_f64_e32 v[14:15], s[54:55], v[150:151]
	v_fma_f64 v[18:19], v[161:162], s[26:27], v[16:17]
	v_fma_f64 v[16:17], v[161:162], s[26:27], -v[16:17]
	v_add_f64_e32 v[4:5], v[12:13], v[10:11]
	v_mul_f64_e32 v[12:13], s[54:55], v[159:160]
	v_fma_f64 v[10:11], v[148:149], s[36:37], -v[14:15]
	v_fma_f64 v[14:15], v[148:149], s[36:37], v[14:15]
	s_delay_alu instid0(VALU_DEP_3) | instskip(NEXT) | instid1(VALU_DEP_3)
	v_fma_f64 v[8:9], v[152:153], s[36:37], v[12:13]
	v_add_f64_e32 v[10:11], v[10:11], v[120:121]
	v_fma_f64 v[12:13], v[152:153], s[36:37], -v[12:13]
	s_delay_alu instid0(VALU_DEP_4) | instskip(NEXT) | instid1(VALU_DEP_4)
	v_add_f64_e32 v[14:15], v[14:15], v[104:105]
	v_add_f64_e32 v[8:9], v[8:9], v[20:21]
	s_delay_alu instid0(VALU_DEP_3) | instskip(NEXT) | instid1(VALU_DEP_2)
	v_add_f64_e32 v[12:13], v[12:13], v[136:137]
	v_add_f64_e32 v[8:9], v[18:19], v[8:9]
	v_mul_f64_e32 v[18:19], s[40:41], v[157:158]
	s_delay_alu instid0(VALU_DEP_3) | instskip(NEXT) | instid1(VALU_DEP_2)
	v_add_f64_e32 v[12:13], v[16:17], v[12:13]
	v_fma_f64 v[20:21], v[154:155], s[26:27], -v[18:19]
	v_fma_f64 v[16:17], v[154:155], s[26:27], v[18:19]
	v_fma_f64 v[18:19], v[191:192], s[10:11], v[221:222]
	s_delay_alu instid0(VALU_DEP_3) | instskip(SKIP_1) | instid1(VALU_DEP_4)
	v_add_f64_e32 v[10:11], v[20:21], v[10:11]
	v_mul_f64_e32 v[20:21], s[8:9], v[175:176]
	v_add_f64_e32 v[14:15], v[16:17], v[14:15]
	s_delay_alu instid0(VALU_DEP_2) | instskip(SKIP_2) | instid1(VALU_DEP_3)
	v_fma_f64 v[92:93], v[169:170], s[2:3], v[20:21]
	v_fma_f64 v[16:17], v[169:170], s[2:3], -v[20:21]
	v_mul_f64_e32 v[20:21], s[50:51], v[159:160]
	v_add_f64_e32 v[8:9], v[92:93], v[8:9]
	v_mul_f64_e32 v[92:93], s[8:9], v[165:166]
	s_delay_alu instid0(VALU_DEP_4) | instskip(NEXT) | instid1(VALU_DEP_2)
	v_add_f64_e32 v[12:13], v[16:17], v[12:13]
	v_fma_f64 v[94:95], v[163:164], s[2:3], -v[92:93]
	v_fma_f64 v[16:17], v[163:164], s[2:3], v[92:93]
	v_mul_f64_e32 v[92:93], s[52:53], v[167:168]
	s_delay_alu instid0(VALU_DEP_3) | instskip(SKIP_1) | instid1(VALU_DEP_4)
	v_add_f64_e32 v[10:11], v[94:95], v[10:11]
	v_mul_f64_e32 v[94:95], s[58:59], v[183:184]
	v_add_f64_e32 v[14:15], v[16:17], v[14:15]
	s_delay_alu instid0(VALU_DEP_2) | instskip(SKIP_3) | instid1(VALU_DEP_4)
	v_fma_f64 v[98:99], v[177:178], s[18:19], v[94:95]
	v_fma_f64 v[16:17], v[177:178], s[18:19], -v[94:95]
	v_fma_f64 v[94:95], v[161:162], s[34:35], v[92:93]
	v_fma_f64 v[92:93], v[161:162], s[34:35], -v[92:93]
	v_add_f64_e32 v[8:9], v[98:99], v[8:9]
	v_mul_f64_e32 v[98:99], s[58:59], v[173:174]
	v_add_f64_e32 v[12:13], v[16:17], v[12:13]
	s_delay_alu instid0(VALU_DEP_2) | instskip(SKIP_1) | instid1(VALU_DEP_2)
	v_fma_f64 v[100:101], v[171:172], s[18:19], -v[98:99]
	v_fma_f64 v[16:17], v[171:172], s[18:19], v[98:99]
	v_add_f64_e32 v[10:11], v[100:101], v[10:11]
	v_mul_f64_e32 v[100:101], s[46:47], v[197:198]
	s_delay_alu instid0(VALU_DEP_3) | instskip(NEXT) | instid1(VALU_DEP_2)
	v_add_f64_e32 v[14:15], v[16:17], v[14:15]
	v_fma_f64 v[102:103], v[185:186], s[34:35], v[100:101]
	v_fma_f64 v[16:17], v[185:186], s[34:35], -v[100:101]
	s_delay_alu instid0(VALU_DEP_2) | instskip(SKIP_1) | instid1(VALU_DEP_3)
	v_add_f64_e32 v[8:9], v[102:103], v[8:9]
	v_mul_f64_e32 v[102:103], s[46:47], v[181:182]
	v_add_f64_e32 v[12:13], v[16:17], v[12:13]
	s_delay_alu instid0(VALU_DEP_2) | instskip(SKIP_1) | instid1(VALU_DEP_2)
	v_fma_f64 v[114:115], v[179:180], s[34:35], -v[102:103]
	v_fma_f64 v[16:17], v[179:180], s[34:35], v[102:103]
	v_add_f64_e32 v[10:11], v[114:115], v[10:11]
	v_mul_f64_e32 v[114:115], s[28:29], v[201:202]
	s_delay_alu instid0(VALU_DEP_3) | instskip(NEXT) | instid1(VALU_DEP_2)
	v_add_f64_e32 v[14:15], v[16:17], v[14:15]
	v_fma_f64 v[120:121], v[189:190], s[24:25], v[114:115]
	v_fma_f64 v[16:17], v[189:190], s[24:25], -v[114:115]
	s_delay_alu instid0(VALU_DEP_2) | instskip(SKIP_1) | instid1(VALU_DEP_3)
	v_add_f64_e32 v[8:9], v[120:121], v[8:9]
	v_mul_f64_e32 v[120:121], s[28:29], v[193:194]
	v_add_f64_e32 v[12:13], v[16:17], v[12:13]
	s_delay_alu instid0(VALU_DEP_2) | instskip(SKIP_1) | instid1(VALU_DEP_2)
	v_fma_f64 v[16:17], v[187:188], s[24:25], v[120:121]
	v_fma_f64 v[217:218], v[187:188], s[24:25], -v[120:121]
	v_add_f64_e32 v[16:17], v[16:17], v[14:15]
	v_fma_f64 v[14:15], v[195:196], s[10:11], -v[219:220]
	s_delay_alu instid0(VALU_DEP_3) | instskip(SKIP_2) | instid1(VALU_DEP_4)
	v_add_f64_e32 v[217:218], v[217:218], v[10:11]
	v_fma_f64 v[10:11], v[195:196], s[10:11], v[219:220]
	v_mul_f64_e32 v[219:220], s[44:45], v[203:204]
	v_add_f64_e32 v[14:15], v[14:15], v[12:13]
	v_add_f64_e32 v[12:13], v[18:19], v[16:17]
	v_fma_f64 v[16:17], v[152:153], s[2:3], v[20:21]
	v_fma_f64 v[20:21], v[152:153], s[2:3], -v[20:21]
	v_add_f64_e32 v[10:11], v[10:11], v[8:9]
	v_fma_f64 v[8:9], v[191:192], s[10:11], -v[221:222]
	v_mul_f64_e32 v[221:222], s[44:45], v[199:200]
	v_add_f64_e32 v[16:17], v[16:17], v[22:23]
	v_mul_f64_e32 v[22:23], s[50:51], v[150:151]
	v_add_f64_e32 v[20:21], v[20:21], v[138:139]
	v_add_f64_e32 v[8:9], v[8:9], v[217:218]
	s_delay_alu instid0(VALU_DEP_4) | instskip(NEXT) | instid1(VALU_DEP_4)
	v_add_f64_e32 v[16:17], v[94:95], v[16:17]
	v_fma_f64 v[18:19], v[148:149], s[2:3], -v[22:23]
	v_mul_f64_e32 v[94:95], s[52:53], v[157:158]
	v_fma_f64 v[22:23], v[148:149], s[2:3], v[22:23]
	v_add_f64_e32 v[20:21], v[92:93], v[20:21]
	s_delay_alu instid0(VALU_DEP_4) | instskip(NEXT) | instid1(VALU_DEP_4)
	v_add_f64_e32 v[18:19], v[18:19], v[122:123]
	v_fma_f64 v[98:99], v[154:155], s[34:35], -v[94:95]
	s_delay_alu instid0(VALU_DEP_4) | instskip(SKIP_2) | instid1(VALU_DEP_4)
	v_add_f64_e32 v[22:23], v[22:23], v[106:107]
	v_fma_f64 v[92:93], v[154:155], s[34:35], v[94:95]
	v_fma_f64 v[94:95], v[191:192], s[22:23], v[221:222]
	v_add_f64_e32 v[18:19], v[98:99], v[18:19]
	v_mul_f64_e32 v[98:99], s[48:49], v[175:176]
	s_delay_alu instid0(VALU_DEP_4) | instskip(NEXT) | instid1(VALU_DEP_2)
	v_add_f64_e32 v[22:23], v[92:93], v[22:23]
	v_fma_f64 v[100:101], v[169:170], s[10:11], v[98:99]
	v_fma_f64 v[92:93], v[169:170], s[10:11], -v[98:99]
	v_mul_f64_e32 v[98:99], s[28:29], v[159:160]
	s_delay_alu instid0(VALU_DEP_3) | instskip(SKIP_1) | instid1(VALU_DEP_4)
	v_add_f64_e32 v[16:17], v[100:101], v[16:17]
	v_mul_f64_e32 v[100:101], s[48:49], v[165:166]
	v_add_f64_e32 v[20:21], v[92:93], v[20:21]
	s_delay_alu instid0(VALU_DEP_2) | instskip(SKIP_2) | instid1(VALU_DEP_3)
	v_fma_f64 v[102:103], v[163:164], s[10:11], -v[100:101]
	v_fma_f64 v[92:93], v[163:164], s[10:11], v[100:101]
	v_mul_f64_e32 v[100:101], s[54:55], v[167:168]
	v_add_f64_e32 v[18:19], v[102:103], v[18:19]
	v_mul_f64_e32 v[102:103], s[28:29], v[183:184]
	s_delay_alu instid0(VALU_DEP_4) | instskip(NEXT) | instid1(VALU_DEP_2)
	v_add_f64_e32 v[22:23], v[92:93], v[22:23]
	v_fma_f64 v[104:105], v[177:178], s[24:25], v[102:103]
	v_fma_f64 v[92:93], v[177:178], s[24:25], -v[102:103]
	v_fma_f64 v[102:103], v[161:162], s[36:37], v[100:101]
	v_fma_f64 v[100:101], v[161:162], s[36:37], -v[100:101]
	s_delay_alu instid0(VALU_DEP_4) | instskip(SKIP_2) | instid1(VALU_DEP_2)
	v_add_f64_e32 v[16:17], v[104:105], v[16:17]
	v_mul_f64_e32 v[104:105], s[28:29], v[173:174]
	v_add_f64_e32 v[20:21], v[92:93], v[20:21]
	v_fma_f64 v[114:115], v[171:172], s[24:25], -v[104:105]
	v_fma_f64 v[92:93], v[171:172], s[24:25], v[104:105]
	s_delay_alu instid0(VALU_DEP_2) | instskip(SKIP_1) | instid1(VALU_DEP_3)
	v_add_f64_e32 v[18:19], v[114:115], v[18:19]
	v_mul_f64_e32 v[114:115], s[58:59], v[197:198]
	v_add_f64_e32 v[22:23], v[92:93], v[22:23]
	s_delay_alu instid0(VALU_DEP_2) | instskip(SKIP_1) | instid1(VALU_DEP_2)
	v_fma_f64 v[120:121], v[185:186], s[18:19], v[114:115]
	v_fma_f64 v[92:93], v[185:186], s[18:19], -v[114:115]
	v_add_f64_e32 v[16:17], v[120:121], v[16:17]
	v_mul_f64_e32 v[120:121], s[58:59], v[181:182]
	s_delay_alu instid0(VALU_DEP_3) | instskip(NEXT) | instid1(VALU_DEP_2)
	v_add_f64_e32 v[20:21], v[92:93], v[20:21]
	v_fma_f64 v[122:123], v[179:180], s[18:19], -v[120:121]
	v_fma_f64 v[92:93], v[179:180], s[18:19], v[120:121]
	s_delay_alu instid0(VALU_DEP_2) | instskip(SKIP_1) | instid1(VALU_DEP_3)
	v_add_f64_e32 v[18:19], v[122:123], v[18:19]
	v_mul_f64_e32 v[122:123], s[40:41], v[201:202]
	v_add_f64_e32 v[22:23], v[92:93], v[22:23]
	s_delay_alu instid0(VALU_DEP_2) | instskip(SKIP_1) | instid1(VALU_DEP_2)
	v_fma_f64 v[136:137], v[189:190], s[26:27], v[122:123]
	v_fma_f64 v[92:93], v[189:190], s[26:27], -v[122:123]
	v_add_f64_e32 v[16:17], v[136:137], v[16:17]
	v_mul_f64_e32 v[136:137], s[40:41], v[193:194]
	s_delay_alu instid0(VALU_DEP_3) | instskip(NEXT) | instid1(VALU_DEP_2)
	v_add_f64_e32 v[20:21], v[92:93], v[20:21]
	v_fma_f64 v[92:93], v[187:188], s[26:27], v[136:137]
	v_fma_f64 v[217:218], v[187:188], s[26:27], -v[136:137]
	s_delay_alu instid0(VALU_DEP_2) | instskip(SKIP_1) | instid1(VALU_DEP_3)
	v_add_f64_e32 v[92:93], v[92:93], v[22:23]
	v_fma_f64 v[22:23], v[195:196], s[22:23], -v[219:220]
	v_add_f64_e32 v[217:218], v[217:218], v[18:19]
	v_fma_f64 v[18:19], v[195:196], s[22:23], v[219:220]
	v_mul_f64_e32 v[219:220], s[52:53], v[203:204]
	s_delay_alu instid0(VALU_DEP_4)
	v_add_f64_e32 v[22:23], v[22:23], v[20:21]
	v_add_f64_e32 v[20:21], v[94:95], v[92:93]
	v_fma_f64 v[92:93], v[152:153], s[24:25], v[98:99]
	v_fma_f64 v[98:99], v[152:153], s[24:25], -v[98:99]
	v_add_f64_e32 v[18:19], v[18:19], v[16:17]
	v_fma_f64 v[16:17], v[191:192], s[22:23], -v[221:222]
	v_mul_f64_e32 v[221:222], s[52:53], v[199:200]
	v_add_f64_e32 v[92:93], v[92:93], v[96:97]
	v_mul_f64_e32 v[96:97], s[28:29], v[150:151]
	v_add_f64_e32 v[98:99], v[98:99], v[144:145]
	v_add_f64_e32 v[16:17], v[16:17], v[217:218]
	s_delay_alu instid0(VALU_DEP_4) | instskip(NEXT) | instid1(VALU_DEP_4)
	v_add_f64_e32 v[92:93], v[102:103], v[92:93]
	v_fma_f64 v[94:95], v[148:149], s[24:25], -v[96:97]
	v_mul_f64_e32 v[102:103], s[54:55], v[157:158]
	v_fma_f64 v[96:97], v[148:149], s[24:25], v[96:97]
	v_add_f64_e32 v[98:99], v[100:101], v[98:99]
	s_delay_alu instid0(VALU_DEP_4) | instskip(NEXT) | instid1(VALU_DEP_4)
	v_add_f64_e32 v[94:95], v[94:95], v[124:125]
	v_fma_f64 v[104:105], v[154:155], s[36:37], -v[102:103]
	s_delay_alu instid0(VALU_DEP_4)
	v_add_f64_e32 v[96:97], v[96:97], v[108:109]
	v_fma_f64 v[100:101], v[154:155], s[36:37], v[102:103]
	v_mul_f64_e32 v[108:109], s[56:57], v[167:168]
	v_fma_f64 v[102:103], v[191:192], s[34:35], v[221:222]
	v_add_f64_e32 v[94:95], v[104:105], v[94:95]
	v_mul_f64_e32 v[104:105], s[30:31], v[175:176]
	v_add_f64_e32 v[96:97], v[100:101], v[96:97]
	s_delay_alu instid0(VALU_DEP_2) | instskip(SKIP_2) | instid1(VALU_DEP_3)
	v_fma_f64 v[106:107], v[169:170], s[26:27], v[104:105]
	v_fma_f64 v[100:101], v[169:170], s[26:27], -v[104:105]
	v_mul_f64_e32 v[104:105], s[44:45], v[159:160]
	v_add_f64_e32 v[92:93], v[106:107], v[92:93]
	v_mul_f64_e32 v[106:107], s[30:31], v[165:166]
	s_delay_alu instid0(VALU_DEP_4) | instskip(NEXT) | instid1(VALU_DEP_2)
	v_add_f64_e32 v[98:99], v[100:101], v[98:99]
	v_fma_f64 v[114:115], v[163:164], s[26:27], -v[106:107]
	v_fma_f64 v[100:101], v[163:164], s[26:27], v[106:107]
	v_mul_f64_e32 v[106:107], s[44:45], v[150:151]
	s_delay_alu instid0(VALU_DEP_3) | instskip(SKIP_1) | instid1(VALU_DEP_4)
	v_add_f64_e32 v[94:95], v[114:115], v[94:95]
	v_mul_f64_e32 v[114:115], s[48:49], v[183:184]
	v_add_f64_e32 v[96:97], v[100:101], v[96:97]
	s_delay_alu instid0(VALU_DEP_2) | instskip(SKIP_3) | instid1(VALU_DEP_4)
	v_fma_f64 v[120:121], v[177:178], s[10:11], v[114:115]
	v_fma_f64 v[100:101], v[177:178], s[10:11], -v[114:115]
	v_fma_f64 v[114:115], v[161:162], s[24:25], v[108:109]
	v_fma_f64 v[108:109], v[161:162], s[24:25], -v[108:109]
	v_add_f64_e32 v[92:93], v[120:121], v[92:93]
	v_mul_f64_e32 v[120:121], s[48:49], v[173:174]
	v_add_f64_e32 v[98:99], v[100:101], v[98:99]
	s_delay_alu instid0(VALU_DEP_2) | instskip(SKIP_1) | instid1(VALU_DEP_2)
	v_fma_f64 v[122:123], v[171:172], s[10:11], -v[120:121]
	v_fma_f64 v[100:101], v[171:172], s[10:11], v[120:121]
	v_add_f64_e32 v[94:95], v[122:123], v[94:95]
	v_mul_f64_e32 v[122:123], s[8:9], v[197:198]
	s_delay_alu instid0(VALU_DEP_3) | instskip(NEXT) | instid1(VALU_DEP_2)
	v_add_f64_e32 v[96:97], v[100:101], v[96:97]
	v_fma_f64 v[124:125], v[185:186], s[2:3], v[122:123]
	v_fma_f64 v[100:101], v[185:186], s[2:3], -v[122:123]
	s_delay_alu instid0(VALU_DEP_2) | instskip(SKIP_1) | instid1(VALU_DEP_3)
	v_add_f64_e32 v[92:93], v[124:125], v[92:93]
	v_mul_f64_e32 v[124:125], s[8:9], v[181:182]
	v_add_f64_e32 v[98:99], v[100:101], v[98:99]
	s_delay_alu instid0(VALU_DEP_2) | instskip(SKIP_1) | instid1(VALU_DEP_2)
	v_fma_f64 v[136:137], v[179:180], s[2:3], -v[124:125]
	v_fma_f64 v[100:101], v[179:180], s[2:3], v[124:125]
	v_add_f64_e32 v[94:95], v[136:137], v[94:95]
	v_mul_f64_e32 v[136:137], s[42:43], v[201:202]
	s_delay_alu instid0(VALU_DEP_3) | instskip(NEXT) | instid1(VALU_DEP_2)
	v_add_f64_e32 v[96:97], v[100:101], v[96:97]
	v_fma_f64 v[138:139], v[189:190], s[22:23], v[136:137]
	v_fma_f64 v[100:101], v[189:190], s[22:23], -v[136:137]
	s_delay_alu instid0(VALU_DEP_2) | instskip(SKIP_1) | instid1(VALU_DEP_3)
	v_add_f64_e32 v[92:93], v[138:139], v[92:93]
	v_mul_f64_e32 v[138:139], s[42:43], v[193:194]
	v_add_f64_e32 v[98:99], v[100:101], v[98:99]
	s_delay_alu instid0(VALU_DEP_2) | instskip(SKIP_1) | instid1(VALU_DEP_2)
	v_fma_f64 v[100:101], v[187:188], s[22:23], v[138:139]
	v_fma_f64 v[217:218], v[187:188], s[22:23], -v[138:139]
	v_add_f64_e32 v[96:97], v[100:101], v[96:97]
	v_fma_f64 v[100:101], v[195:196], s[34:35], -v[219:220]
	s_delay_alu instid0(VALU_DEP_3)
	v_add_f64_e32 v[217:218], v[217:218], v[94:95]
	v_fma_f64 v[94:95], v[195:196], s[34:35], v[219:220]
	v_mul_f64_e32 v[219:220], s[8:9], v[203:204]
	v_add_f64_e32 v[96:97], v[102:103], v[96:97]
	v_add_f64_e32 v[98:99], v[100:101], v[98:99]
	v_fma_f64 v[100:101], v[152:153], s[22:23], v[104:105]
	v_fma_f64 v[102:103], v[148:149], s[22:23], -v[106:107]
	v_fma_f64 v[104:105], v[152:153], s[22:23], -v[104:105]
	v_fma_f64 v[106:107], v[148:149], s[22:23], v[106:107]
	v_add_f64_e32 v[94:95], v[94:95], v[92:93]
	v_fma_f64 v[92:93], v[191:192], s[34:35], -v[221:222]
	v_mul_f64_e32 v[221:222], s[8:9], v[199:200]
	v_add_f64_e32 v[100:101], v[100:101], v[146:147]
	v_add_f64_e32 v[102:103], v[102:103], v[126:127]
	;; [unrolled: 1-line block ×5, first 2 shown]
	v_fma_f64 v[110:111], v[191:192], s[2:3], v[221:222]
	v_add_f64_e32 v[100:101], v[114:115], v[100:101]
	v_mul_f64_e32 v[114:115], s[56:57], v[157:158]
	v_add_f64_e32 v[104:105], v[108:109], v[104:105]
	s_delay_alu instid0(VALU_DEP_2) | instskip(SKIP_2) | instid1(VALU_DEP_3)
	v_fma_f64 v[120:121], v[154:155], s[24:25], -v[114:115]
	v_fma_f64 v[108:109], v[154:155], s[24:25], v[114:115]
	v_mul_f64_e32 v[114:115], s[20:21], v[159:160]
	v_add_f64_e32 v[102:103], v[120:121], v[102:103]
	v_mul_f64_e32 v[120:121], s[54:55], v[175:176]
	s_delay_alu instid0(VALU_DEP_4) | instskip(NEXT) | instid1(VALU_DEP_2)
	v_add_f64_e32 v[106:107], v[108:109], v[106:107]
	v_fma_f64 v[122:123], v[169:170], s[36:37], v[120:121]
	v_fma_f64 v[108:109], v[169:170], s[36:37], -v[120:121]
	v_mul_f64_e32 v[120:121], s[20:21], v[150:151]
	s_delay_alu instid0(VALU_DEP_3) | instskip(SKIP_1) | instid1(VALU_DEP_4)
	v_add_f64_e32 v[100:101], v[122:123], v[100:101]
	v_mul_f64_e32 v[122:123], s[54:55], v[165:166]
	v_add_f64_e32 v[104:105], v[108:109], v[104:105]
	s_delay_alu instid0(VALU_DEP_2) | instskip(SKIP_2) | instid1(VALU_DEP_3)
	v_fma_f64 v[124:125], v[163:164], s[36:37], -v[122:123]
	v_fma_f64 v[108:109], v[163:164], s[36:37], v[122:123]
	v_mul_f64_e32 v[122:123], s[44:45], v[167:168]
	v_add_f64_e32 v[102:103], v[124:125], v[102:103]
	v_mul_f64_e32 v[124:125], s[52:53], v[183:184]
	s_delay_alu instid0(VALU_DEP_4) | instskip(NEXT) | instid1(VALU_DEP_2)
	v_add_f64_e32 v[106:107], v[108:109], v[106:107]
	v_fma_f64 v[126:127], v[177:178], s[34:35], v[124:125]
	v_fma_f64 v[108:109], v[177:178], s[34:35], -v[124:125]
	v_fma_f64 v[124:125], v[161:162], s[22:23], v[122:123]
	s_delay_alu instid0(VALU_DEP_3) | instskip(SKIP_1) | instid1(VALU_DEP_4)
	v_add_f64_e32 v[100:101], v[126:127], v[100:101]
	v_mul_f64_e32 v[126:127], s[52:53], v[173:174]
	v_add_f64_e32 v[104:105], v[108:109], v[104:105]
	s_delay_alu instid0(VALU_DEP_2) | instskip(SKIP_1) | instid1(VALU_DEP_2)
	v_fma_f64 v[136:137], v[171:172], s[34:35], -v[126:127]
	v_fma_f64 v[108:109], v[171:172], s[34:35], v[126:127]
	v_add_f64_e32 v[102:103], v[136:137], v[102:103]
	v_mul_f64_e32 v[136:137], s[40:41], v[197:198]
	s_delay_alu instid0(VALU_DEP_3) | instskip(NEXT) | instid1(VALU_DEP_2)
	v_add_f64_e32 v[106:107], v[108:109], v[106:107]
	v_fma_f64 v[138:139], v[185:186], s[26:27], v[136:137]
	v_fma_f64 v[108:109], v[185:186], s[26:27], -v[136:137]
	s_delay_alu instid0(VALU_DEP_2) | instskip(SKIP_1) | instid1(VALU_DEP_3)
	v_add_f64_e32 v[100:101], v[138:139], v[100:101]
	v_mul_f64_e32 v[138:139], s[40:41], v[181:182]
	v_add_f64_e32 v[104:105], v[108:109], v[104:105]
	s_delay_alu instid0(VALU_DEP_2) | instskip(SKIP_1) | instid1(VALU_DEP_2)
	v_fma_f64 v[144:145], v[179:180], s[26:27], -v[138:139]
	v_fma_f64 v[108:109], v[179:180], s[26:27], v[138:139]
	v_add_f64_e32 v[102:103], v[144:145], v[102:103]
	v_mul_f64_e32 v[144:145], s[20:21], v[201:202]
	s_delay_alu instid0(VALU_DEP_3) | instskip(NEXT) | instid1(VALU_DEP_2)
	v_add_f64_e32 v[106:107], v[108:109], v[106:107]
	v_fma_f64 v[146:147], v[189:190], s[18:19], v[144:145]
	v_fma_f64 v[108:109], v[189:190], s[18:19], -v[144:145]
	s_delay_alu instid0(VALU_DEP_2) | instskip(SKIP_1) | instid1(VALU_DEP_3)
	v_add_f64_e32 v[100:101], v[146:147], v[100:101]
	v_mul_f64_e32 v[146:147], s[20:21], v[193:194]
	v_add_f64_e32 v[104:105], v[108:109], v[104:105]
	s_delay_alu instid0(VALU_DEP_2) | instskip(SKIP_1) | instid1(VALU_DEP_2)
	v_fma_f64 v[108:109], v[187:188], s[18:19], v[146:147]
	v_fma_f64 v[217:218], v[187:188], s[18:19], -v[146:147]
	v_add_f64_e32 v[108:109], v[108:109], v[106:107]
	v_fma_f64 v[106:107], v[195:196], s[2:3], -v[219:220]
	s_delay_alu instid0(VALU_DEP_3) | instskip(SKIP_2) | instid1(VALU_DEP_4)
	v_add_f64_e32 v[217:218], v[217:218], v[102:103]
	v_fma_f64 v[102:103], v[195:196], s[2:3], v[219:220]
	v_mul_f64_e32 v[219:220], s[30:31], v[203:204]
	v_add_f64_e32 v[106:107], v[106:107], v[104:105]
	v_add_f64_e32 v[104:105], v[110:111], v[108:109]
	v_fma_f64 v[108:109], v[152:153], s[18:19], v[114:115]
	v_fma_f64 v[110:111], v[148:149], s[18:19], -v[120:121]
	v_fma_f64 v[114:115], v[152:153], s[18:19], -v[114:115]
	v_fma_f64 v[120:121], v[148:149], s[18:19], v[120:121]
	v_add_f64_e32 v[102:103], v[102:103], v[100:101]
	v_fma_f64 v[100:101], v[191:192], s[2:3], -v[221:222]
	v_mul_f64_e32 v[221:222], s[30:31], v[199:200]
	v_add_f64_e32 v[108:109], v[108:109], v[207:208]
	v_add_f64_e32 v[110:111], v[110:111], v[132:133]
	;; [unrolled: 1-line block ×4, first 2 shown]
	v_fma_f64 v[120:121], v[161:162], s[22:23], -v[122:123]
	v_add_f64_e32 v[100:101], v[100:101], v[217:218]
	v_fma_f64 v[122:123], v[191:192], s[26:27], v[221:222]
	v_add_f64_e32 v[108:109], v[124:125], v[108:109]
	v_mul_f64_e32 v[124:125], s[44:45], v[157:158]
	v_add_f64_e32 v[114:115], v[120:121], v[114:115]
	s_delay_alu instid0(VALU_DEP_2) | instskip(SKIP_2) | instid1(VALU_DEP_3)
	v_fma_f64 v[126:127], v[154:155], s[22:23], -v[124:125]
	v_fma_f64 v[120:121], v[154:155], s[22:23], v[124:125]
	v_mul_f64_e32 v[124:125], s[46:47], v[159:160]
	v_add_f64_e32 v[110:111], v[126:127], v[110:111]
	v_mul_f64_e32 v[126:127], s[28:29], v[175:176]
	s_delay_alu instid0(VALU_DEP_4) | instskip(NEXT) | instid1(VALU_DEP_2)
	v_add_f64_e32 v[112:113], v[120:121], v[112:113]
	v_fma_f64 v[132:133], v[169:170], s[24:25], v[126:127]
	v_fma_f64 v[120:121], v[169:170], s[24:25], -v[126:127]
	v_mul_f64_e32 v[126:127], s[46:47], v[150:151]
	s_delay_alu instid0(VALU_DEP_3) | instskip(SKIP_1) | instid1(VALU_DEP_4)
	v_add_f64_e32 v[108:109], v[132:133], v[108:109]
	v_mul_f64_e32 v[132:133], s[28:29], v[165:166]
	v_add_f64_e32 v[114:115], v[120:121], v[114:115]
	s_delay_alu instid0(VALU_DEP_2) | instskip(SKIP_2) | instid1(VALU_DEP_3)
	v_fma_f64 v[136:137], v[163:164], s[24:25], -v[132:133]
	v_fma_f64 v[120:121], v[163:164], s[24:25], v[132:133]
	v_mul_f64_e32 v[132:133], s[48:49], v[167:168]
	v_add_f64_e32 v[110:111], v[136:137], v[110:111]
	v_mul_f64_e32 v[136:137], s[50:51], v[183:184]
	s_delay_alu instid0(VALU_DEP_4) | instskip(NEXT) | instid1(VALU_DEP_2)
	v_add_f64_e32 v[112:113], v[120:121], v[112:113]
	v_fma_f64 v[138:139], v[177:178], s[2:3], v[136:137]
	v_fma_f64 v[120:121], v[177:178], s[2:3], -v[136:137]
	v_fma_f64 v[136:137], v[161:162], s[10:11], -v[132:133]
	v_fma_f64 v[132:133], v[161:162], s[10:11], v[132:133]
	s_delay_alu instid0(VALU_DEP_4) | instskip(SKIP_2) | instid1(VALU_DEP_2)
	v_add_f64_e32 v[108:109], v[138:139], v[108:109]
	v_mul_f64_e32 v[138:139], s[50:51], v[173:174]
	v_add_f64_e32 v[114:115], v[120:121], v[114:115]
	v_fma_f64 v[144:145], v[171:172], s[2:3], -v[138:139]
	v_fma_f64 v[120:121], v[171:172], s[2:3], v[138:139]
	s_delay_alu instid0(VALU_DEP_2) | instskip(SKIP_1) | instid1(VALU_DEP_3)
	v_add_f64_e32 v[110:111], v[144:145], v[110:111]
	v_mul_f64_e32 v[144:145], s[54:55], v[197:198]
	v_add_f64_e32 v[112:113], v[120:121], v[112:113]
	s_delay_alu instid0(VALU_DEP_2) | instskip(SKIP_1) | instid1(VALU_DEP_2)
	v_fma_f64 v[146:147], v[185:186], s[36:37], v[144:145]
	v_fma_f64 v[120:121], v[185:186], s[36:37], -v[144:145]
	v_add_f64_e32 v[108:109], v[146:147], v[108:109]
	v_mul_f64_e32 v[146:147], s[54:55], v[181:182]
	s_delay_alu instid0(VALU_DEP_3) | instskip(NEXT) | instid1(VALU_DEP_2)
	v_add_f64_e32 v[114:115], v[120:121], v[114:115]
	v_fma_f64 v[205:206], v[179:180], s[36:37], -v[146:147]
	v_fma_f64 v[120:121], v[179:180], s[36:37], v[146:147]
	s_delay_alu instid0(VALU_DEP_2) | instskip(SKIP_1) | instid1(VALU_DEP_3)
	v_add_f64_e32 v[110:111], v[205:206], v[110:111]
	v_mul_f64_e32 v[205:206], s[16:17], v[201:202]
	v_add_f64_e32 v[112:113], v[120:121], v[112:113]
	s_delay_alu instid0(VALU_DEP_2) | instskip(SKIP_1) | instid1(VALU_DEP_2)
	v_fma_f64 v[207:208], v[189:190], s[10:11], v[205:206]
	v_fma_f64 v[120:121], v[189:190], s[10:11], -v[205:206]
	v_add_f64_e32 v[108:109], v[207:208], v[108:109]
	v_mul_f64_e32 v[207:208], s[16:17], v[193:194]
	s_delay_alu instid0(VALU_DEP_3) | instskip(NEXT) | instid1(VALU_DEP_2)
	v_add_f64_e32 v[114:115], v[120:121], v[114:115]
	v_fma_f64 v[120:121], v[187:188], s[10:11], v[207:208]
	v_fma_f64 v[217:218], v[187:188], s[10:11], -v[207:208]
	s_delay_alu instid0(VALU_DEP_2) | instskip(SKIP_1) | instid1(VALU_DEP_3)
	v_add_f64_e32 v[112:113], v[120:121], v[112:113]
	v_fma_f64 v[120:121], v[195:196], s[26:27], -v[219:220]
	v_add_f64_e32 v[217:218], v[217:218], v[110:111]
	v_fma_f64 v[110:111], v[195:196], s[26:27], v[219:220]
	s_delay_alu instid0(VALU_DEP_4) | instskip(NEXT) | instid1(VALU_DEP_4)
	v_add_f64_e32 v[112:113], v[122:123], v[112:113]
	v_add_f64_e32 v[114:115], v[120:121], v[114:115]
	v_fma_f64 v[120:121], v[152:153], s[34:35], -v[124:125]
	v_fma_f64 v[122:123], v[148:149], s[34:35], v[126:127]
	v_fma_f64 v[124:125], v[152:153], s[34:35], v[124:125]
	v_fma_f64 v[126:127], v[148:149], s[34:35], -v[126:127]
	v_add_f64_e32 v[110:111], v[110:111], v[108:109]
	v_fma_f64 v[108:109], v[191:192], s[26:27], -v[221:222]
	v_add_f64_e32 v[120:121], v[120:121], v[213:214]
	v_add_f64_e32 v[122:123], v[122:123], v[215:216]
	;; [unrolled: 1-line block ×6, first 2 shown]
	v_mul_f64_e32 v[136:137], s[48:49], v[157:158]
	v_add_f64_e32 v[124:125], v[132:133], v[124:125]
	s_delay_alu instid0(VALU_DEP_2) | instskip(SKIP_1) | instid1(VALU_DEP_2)
	v_fma_f64 v[138:139], v[154:155], s[10:11], v[136:137]
	v_fma_f64 v[136:137], v[154:155], s[10:11], -v[136:137]
	v_add_f64_e32 v[122:123], v[138:139], v[122:123]
	v_mul_f64_e32 v[138:139], s[20:21], v[175:176]
	s_delay_alu instid0(VALU_DEP_3) | instskip(SKIP_1) | instid1(VALU_DEP_3)
	v_add_f64_e32 v[126:127], v[136:137], v[126:127]
	v_mul_f64_e32 v[175:176], s[28:29], v[203:204]
	v_fma_f64 v[144:145], v[169:170], s[18:19], -v[138:139]
	v_fma_f64 v[134:135], v[169:170], s[18:19], v[138:139]
	s_delay_alu instid0(VALU_DEP_2) | instskip(SKIP_1) | instid1(VALU_DEP_3)
	v_add_f64_e32 v[120:121], v[144:145], v[120:121]
	v_mul_f64_e32 v[144:145], s[20:21], v[165:166]
	v_add_f64_e32 v[124:125], v[134:135], v[124:125]
	s_delay_alu instid0(VALU_DEP_2) | instskip(SKIP_1) | instid1(VALU_DEP_2)
	v_fma_f64 v[146:147], v[163:164], s[18:19], v[144:145]
	v_fma_f64 v[138:139], v[163:164], s[18:19], -v[144:145]
	v_add_f64_e32 v[122:123], v[146:147], v[122:123]
	v_mul_f64_e32 v[146:147], s[38:39], v[183:184]
	s_delay_alu instid0(VALU_DEP_3) | instskip(NEXT) | instid1(VALU_DEP_2)
	v_add_f64_e32 v[126:127], v[138:139], v[126:127]
	v_fma_f64 v[150:151], v[177:178], s[36:37], -v[146:147]
	v_fma_f64 v[132:133], v[177:178], s[36:37], v[146:147]
	s_delay_alu instid0(VALU_DEP_2) | instskip(SKIP_1) | instid1(VALU_DEP_3)
	v_add_f64_e32 v[120:121], v[150:151], v[120:121]
	v_mul_f64_e32 v[150:151], s[38:39], v[173:174]
	v_add_f64_e32 v[124:125], v[132:133], v[124:125]
	s_delay_alu instid0(VALU_DEP_2) | instskip(SKIP_1) | instid1(VALU_DEP_2)
	v_fma_f64 v[157:158], v[171:172], s[36:37], v[150:151]
	v_fma_f64 v[136:137], v[171:172], s[36:37], -v[150:151]
	v_add_f64_e32 v[122:123], v[157:158], v[122:123]
	v_mul_f64_e32 v[157:158], s[44:45], v[197:198]
	s_delay_alu instid0(VALU_DEP_3) | instskip(NEXT) | instid1(VALU_DEP_2)
	v_add_f64_e32 v[126:127], v[136:137], v[126:127]
	v_fma_f64 v[159:160], v[185:186], s[22:23], -v[157:158]
	v_fma_f64 v[134:135], v[185:186], s[22:23], v[157:158]
	s_delay_alu instid0(VALU_DEP_2) | instskip(SKIP_2) | instid1(VALU_DEP_4)
	v_add_f64_e32 v[120:121], v[159:160], v[120:121]
	v_mul_f64_e32 v[159:160], s[44:45], v[181:182]
	v_mul_f64_e32 v[181:182], s[28:29], v[199:200]
	v_add_f64_e32 v[124:125], v[134:135], v[124:125]
	v_fma_f64 v[134:135], v[195:196], s[24:25], v[175:176]
	s_delay_alu instid0(VALU_DEP_4) | instskip(SKIP_1) | instid1(VALU_DEP_2)
	v_fma_f64 v[165:166], v[179:180], s[22:23], v[159:160]
	v_fma_f64 v[138:139], v[179:180], s[22:23], -v[159:160]
	v_add_f64_e32 v[122:123], v[165:166], v[122:123]
	v_mul_f64_e32 v[165:166], s[8:9], v[201:202]
	s_delay_alu instid0(VALU_DEP_3) | instskip(SKIP_1) | instid1(VALU_DEP_3)
	v_add_f64_e32 v[126:127], v[138:139], v[126:127]
	v_fma_f64 v[138:139], v[191:192], s[24:25], -v[181:182]
	v_fma_f64 v[167:168], v[189:190], s[2:3], -v[165:166]
	v_fma_f64 v[132:133], v[189:190], s[2:3], v[165:166]
	s_delay_alu instid0(VALU_DEP_2) | instskip(SKIP_1) | instid1(VALU_DEP_3)
	v_add_f64_e32 v[120:121], v[167:168], v[120:121]
	v_mul_f64_e32 v[167:168], s[8:9], v[193:194]
	v_add_f64_e32 v[124:125], v[132:133], v[124:125]
	s_delay_alu instid0(VALU_DEP_2) | instskip(SKIP_1) | instid1(VALU_DEP_2)
	v_fma_f64 v[173:174], v[187:188], s[2:3], v[167:168]
	v_fma_f64 v[136:137], v[187:188], s[2:3], -v[167:168]
	v_add_f64_e32 v[173:174], v[173:174], v[122:123]
	v_fma_f64 v[122:123], v[195:196], s[24:25], -v[175:176]
	s_delay_alu instid0(VALU_DEP_3) | instskip(SKIP_1) | instid1(VALU_DEP_3)
	v_add_f64_e32 v[132:133], v[136:137], v[126:127]
	v_add_f64_e32 v[126:127], v[134:135], v[124:125]
	;; [unrolled: 1-line block ×3, first 2 shown]
	v_fma_f64 v[120:121], v[191:192], s[24:25], v[181:182]
	s_delay_alu instid0(VALU_DEP_4) | instskip(SKIP_1) | instid1(VALU_DEP_1)
	v_add_f64_e32 v[124:125], v[138:139], v[132:133]
	v_mul_lo_u16 v132, v156, 17
	v_and_b32_e32 v132, 0xffff, v132
	s_delay_alu instid0(VALU_DEP_1)
	v_lshlrev_b32_e32 v132, 4, v132
	v_add_f64_e32 v[120:121], v[120:121], v[173:174]
	ds_store_b128 v132, v[112:115] offset:32
	ds_store_b128 v132, v[104:107] offset:48
	;; [unrolled: 1-line block ×15, first 2 shown]
	ds_store_b128 v132, v[0:3]
	ds_store_b128 v132, v[124:127] offset:256
.LBB0_17:
	s_wait_alu 0xfffe
	s_or_b32 exec_lo, exec_lo, s1
	global_wb scope:SCOPE_SE
	s_wait_dscnt 0x0
	s_barrier_signal -1
	s_barrier_wait -1
	global_inv scope:SCOPE_SE
	ds_load_b128 v[0:3], v255 offset:2992
	ds_load_b128 v[4:7], v255 offset:5984
	;; [unrolled: 1-line block ×7, first 2 shown]
	s_mov_b32 s2, 0x667f3bcd
	s_mov_b32 s3, 0xbfe6a09e
	;; [unrolled: 1-line block ×3, first 2 shown]
	s_wait_alu 0xfffe
	s_mov_b32 s8, s2
	s_wait_dscnt 0x6
	v_mul_f64_e32 v[96:97], v[34:35], v[2:3]
	v_mul_f64_e32 v[34:35], v[34:35], v[0:1]
	s_wait_dscnt 0x5
	v_mul_f64_e32 v[98:99], v[30:31], v[6:7]
	v_mul_f64_e32 v[30:31], v[30:31], v[4:5]
	;; [unrolled: 3-line block ×7, first 2 shown]
	v_fma_f64 v[96:97], v[32:33], v[0:1], v[96:97]
	v_fma_f64 v[32:33], v[32:33], v[2:3], -v[34:35]
	v_fma_f64 v[4:5], v[28:29], v[4:5], v[98:99]
	v_fma_f64 v[6:7], v[28:29], v[6:7], -v[30:31]
	v_fma_f64 v[8:9], v[24:25], v[8:9], v[100:101]
	v_fma_f64 v[10:11], v[24:25], v[10:11], -v[26:27]
	v_fma_f64 v[12:13], v[40:41], v[12:13], v[102:103]
	v_fma_f64 v[14:15], v[40:41], v[14:15], -v[42:43]
	v_fma_f64 v[16:17], v[52:53], v[16:17], v[104:105]
	v_fma_f64 v[18:19], v[52:53], v[18:19], -v[54:55]
	v_fma_f64 v[20:21], v[48:49], v[20:21], v[106:107]
	v_fma_f64 v[22:23], v[48:49], v[22:23], -v[50:51]
	v_fma_f64 v[24:25], v[44:45], v[92:93], v[108:109]
	v_fma_f64 v[26:27], v[44:45], v[94:95], -v[46:47]
	ds_load_b128 v[0:3], v255
	global_wb scope:SCOPE_SE
	s_wait_dscnt 0x0
	s_barrier_signal -1
	s_barrier_wait -1
	global_inv scope:SCOPE_SE
	v_add_f64_e64 v[8:9], v[0:1], -v[8:9]
	v_add_f64_e64 v[10:11], v[2:3], -v[10:11]
	;; [unrolled: 1-line block ×8, first 2 shown]
	v_fma_f64 v[0:1], v[0:1], 2.0, -v[8:9]
	v_fma_f64 v[2:3], v[2:3], 2.0, -v[10:11]
	v_fma_f64 v[4:5], v[4:5], 2.0, -v[12:13]
	v_fma_f64 v[6:7], v[6:7], 2.0, -v[14:15]
	v_fma_f64 v[28:29], v[96:97], 2.0, -v[16:17]
	v_fma_f64 v[30:31], v[32:33], 2.0, -v[18:19]
	v_add_f64_e32 v[14:15], v[8:9], v[14:15]
	v_add_f64_e64 v[32:33], v[10:11], -v[12:13]
	v_fma_f64 v[12:13], v[20:21], 2.0, -v[24:25]
	v_fma_f64 v[20:21], v[22:23], 2.0, -v[26:27]
	v_add_f64_e32 v[22:23], v[16:17], v[26:27]
	v_add_f64_e64 v[34:35], v[18:19], -v[24:25]
	v_add_f64_e64 v[4:5], v[0:1], -v[4:5]
	;; [unrolled: 1-line block ×3, first 2 shown]
	v_fma_f64 v[8:9], v[8:9], 2.0, -v[14:15]
	v_fma_f64 v[10:11], v[10:11], 2.0, -v[32:33]
	v_add_f64_e64 v[12:13], v[28:29], -v[12:13]
	v_add_f64_e64 v[20:21], v[30:31], -v[20:21]
	v_fma_f64 v[40:41], v[16:17], 2.0, -v[22:23]
	v_fma_f64 v[42:43], v[18:19], 2.0, -v[34:35]
	s_wait_alu 0xfffe
	v_fma_f64 v[16:17], v[22:23], s[8:9], v[14:15]
	v_fma_f64 v[18:19], v[34:35], s[8:9], v[32:33]
	v_fma_f64 v[0:1], v[0:1], 2.0, -v[4:5]
	v_fma_f64 v[2:3], v[2:3], 2.0, -v[6:7]
	;; [unrolled: 1-line block ×4, first 2 shown]
	v_fma_f64 v[48:49], v[40:41], s[2:3], v[8:9]
	v_fma_f64 v[50:51], v[42:43], s[2:3], v[10:11]
	v_add_f64_e32 v[24:25], v[4:5], v[20:21]
	v_add_f64_e64 v[26:27], v[6:7], -v[12:13]
	v_fma_f64 v[28:29], v[34:35], s[8:9], v[16:17]
	v_fma_f64 v[30:31], v[22:23], s[2:3], v[18:19]
	v_add_f64_e64 v[16:17], v[0:1], -v[44:45]
	v_add_f64_e64 v[18:19], v[2:3], -v[46:47]
	v_fma_f64 v[20:21], v[42:43], s[8:9], v[48:49]
	v_fma_f64 v[22:23], v[40:41], s[2:3], v[50:51]
	v_fma_f64 v[4:5], v[4:5], 2.0, -v[24:25]
	v_fma_f64 v[6:7], v[6:7], 2.0, -v[26:27]
	;; [unrolled: 1-line block ×8, first 2 shown]
	ds_store_b128 v245, v[24:27] offset:1632
	ds_store_b128 v245, v[28:31] offset:1904
	;; [unrolled: 1-line block ×6, first 2 shown]
	ds_store_b128 v245, v[0:3]
	ds_store_b128 v245, v[8:11] offset:272
	global_wb scope:SCOPE_SE
	s_wait_dscnt 0x0
	s_barrier_signal -1
	s_barrier_wait -1
	global_inv scope:SCOPE_SE
	s_and_saveexec_b32 s1, s0
	s_cbranch_execz .LBB0_19
; %bb.18:
	ds_load_b128 v[0:3], v255
	ds_load_b128 v[8:11], v255 offset:2176
	ds_load_b128 v[4:7], v255 offset:4352
	;; [unrolled: 1-line block ×10, first 2 shown]
.LBB0_19:
	s_wait_alu 0xfffe
	s_or_b32 exec_lo, exec_lo, s1
	s_and_saveexec_b32 s18, s0
	s_cbranch_execz .LBB0_21
; %bb.20:
	s_wait_dscnt 0x9
	v_mul_f64_e32 v[32:33], v[38:39], v[8:9]
	v_mul_f64_e32 v[34:35], v[38:39], v[10:11]
	s_wait_dscnt 0x5
	v_mul_f64_e32 v[38:39], v[86:87], v[22:23]
	v_mul_f64_e32 v[42:43], v[86:87], v[20:21]
	;; [unrolled: 3-line block ×4, first 2 shown]
	v_mul_f64_e32 v[82:83], v[58:59], v[6:7]
	v_mul_f64_e32 v[58:59], v[58:59], v[4:5]
	;; [unrolled: 1-line block ×3, first 2 shown]
	s_wait_dscnt 0x0
	v_mul_f64_e32 v[90:91], v[62:63], v[118:119]
	v_mul_f64_e32 v[62:63], v[62:63], v[116:117]
	;; [unrolled: 1-line block ×9, first 2 shown]
	s_mov_b32 s24, 0xbb3a28a1
	s_mov_b32 s28, 0xfd768dbf
	;; [unrolled: 1-line block ×11, first 2 shown]
	s_wait_alu 0xfffe
	s_mov_b32 s30, s26
	s_mov_b32 s8, 0x7f775887
	;; [unrolled: 1-line block ×7, first 2 shown]
	v_fma_f64 v[32:33], v[36:37], v[10:11], -v[32:33]
	v_fma_f64 v[34:35], v[36:37], v[8:9], v[34:35]
	v_fma_f64 v[20:21], v[84:85], v[20:21], v[38:39]
	v_fma_f64 v[22:23], v[84:85], v[22:23], -v[42:43]
	v_fma_f64 v[26:27], v[88:89], v[26:27], -v[44:45]
	v_fma_f64 v[36:37], v[76:77], v[16:17], v[46:47]
	v_fma_f64 v[16:17], v[80:81], v[28:29], v[48:49]
	s_mov_b32 s34, s20
	v_fma_f64 v[38:39], v[56:57], v[4:5], v[82:83]
	v_fma_f64 v[42:43], v[56:57], v[6:7], -v[58:59]
	v_fma_f64 v[24:25], v[88:89], v[24:25], v[40:41]
	v_fma_f64 v[4:5], v[60:61], v[116:117], v[90:91]
	v_fma_f64 v[6:7], v[60:61], v[118:119], -v[62:63]
	v_fma_f64 v[28:29], v[76:77], v[18:19], -v[50:51]
	;; [unrolled: 1-line block ×3, first 2 shown]
	v_fma_f64 v[30:31], v[68:69], v[12:13], v[54:55]
	v_fma_f64 v[12:13], v[72:73], v[128:129], v[78:79]
	v_fma_f64 v[40:41], v[68:69], v[14:15], -v[70:71]
	v_fma_f64 v[14:15], v[72:73], v[130:131], -v[74:75]
	v_fma_f64 v[8:9], v[64:65], v[140:141], v[86:87]
	v_fma_f64 v[10:11], v[64:65], v[142:143], -v[66:67]
	s_mov_b32 s36, s28
	s_mov_b32 s16, 0x640f44db
	;; [unrolled: 1-line block ×7, first 2 shown]
	v_add_f64_e32 v[44:45], v[2:3], v[32:33]
	v_add_f64_e32 v[46:47], v[0:1], v[34:35]
	v_add_f64_e64 v[58:59], v[22:23], -v[26:27]
	v_add_f64_e32 v[68:69], v[22:23], v[26:27]
	v_add_f64_e64 v[50:51], v[36:37], -v[16:17]
	;; [unrolled: 2-line block ×3, first 2 shown]
	v_add_f64_e64 v[56:57], v[34:35], -v[4:5]
	v_add_f64_e64 v[66:67], v[32:33], -v[6:7]
	v_add_f64_e32 v[32:33], v[6:7], v[32:33]
	v_add_f64_e64 v[60:61], v[28:29], -v[18:19]
	v_add_f64_e32 v[34:35], v[4:5], v[34:35]
	;; [unrolled: 2-line block ×4, first 2 shown]
	v_add_f64_e64 v[54:55], v[38:39], -v[8:9]
	v_add_f64_e64 v[64:65], v[42:43], -v[10:11]
	v_add_f64_e32 v[70:71], v[18:19], v[28:29]
	v_add_f64_e32 v[74:75], v[20:21], v[24:25]
	;; [unrolled: 1-line block ×6, first 2 shown]
	v_mul_f64_e32 v[106:107], s[22:23], v[58:59]
	v_mul_f64_e32 v[90:91], s[20:21], v[58:59]
	;; [unrolled: 1-line block ×4, first 2 shown]
	s_wait_alu 0xfffe
	v_mul_f64_e32 v[118:119], s[30:31], v[50:51]
	v_mul_f64_e32 v[138:139], s[34:35], v[50:51]
	;; [unrolled: 1-line block ×11, first 2 shown]
	s_mov_b32 s23, 0xbfed1bb4
	v_mul_f64_e32 v[152:153], s[30:31], v[56:57]
	s_wait_alu 0xfffe
	v_mul_f64_e32 v[154:155], s[22:23], v[66:67]
	v_mul_f64_e32 v[66:67], s[30:31], v[66:67]
	;; [unrolled: 1-line block ×17, first 2 shown]
	v_add_f64_e32 v[40:41], v[40:41], v[44:45]
	v_add_f64_e32 v[30:31], v[30:31], v[46:47]
	v_mul_f64_e32 v[46:47], s[24:25], v[56:57]
	v_mul_f64_e32 v[56:57], s[22:23], v[56:57]
	;; [unrolled: 1-line block ×9, first 2 shown]
	v_fma_f64 v[161:162], v[32:33], s[2:3], v[88:89]
	v_fma_f64 v[171:172], v[34:35], s[2:3], -v[98:99]
	v_fma_f64 v[175:176], v[34:35], s[8:9], -v[114:115]
	v_fma_f64 v[114:115], v[34:35], s[8:9], v[114:115]
	v_fma_f64 v[88:89], v[32:33], s[2:3], -v[88:89]
	v_fma_f64 v[98:99], v[34:35], s[2:3], v[98:99]
	v_fma_f64 v[177:178], v[32:33], s[16:17], v[124:125]
	v_fma_f64 v[179:180], v[34:35], s[16:17], -v[134:135]
	v_fma_f64 v[124:125], v[32:33], s[16:17], -v[124:125]
	v_fma_f64 v[181:182], v[32:33], s[10:11], v[152:153]
	v_fma_f64 v[152:153], v[32:33], s[10:11], -v[152:153]
	v_fma_f64 v[185:186], v[34:35], s[0:1], v[154:155]
	v_fma_f64 v[134:135], v[34:35], s[16:17], v[134:135]
	;; [unrolled: 1-line block ×3, first 2 shown]
	v_fma_f64 v[169:170], v[38:39], s[10:11], -v[96:97]
	v_fma_f64 v[86:87], v[42:43], s[10:11], -v[86:87]
	v_fma_f64 v[96:97], v[38:39], s[10:11], v[96:97]
	v_fma_f64 v[187:188], v[38:39], s[2:3], -v[132:133]
	v_fma_f64 v[132:133], v[38:39], s[2:3], v[132:133]
	v_fma_f64 v[189:190], v[42:43], s[8:9], v[142:143]
	v_fma_f64 v[191:192], v[38:39], s[8:9], -v[150:151]
	v_fma_f64 v[142:143], v[42:43], s[8:9], -v[142:143]
	v_fma_f64 v[150:151], v[38:39], s[8:9], v[150:151]
	v_fma_f64 v[157:158], v[72:73], s[8:9], v[84:85]
	v_fma_f64 v[167:168], v[78:79], s[8:9], -v[94:95]
	v_fma_f64 v[84:85], v[72:73], s[8:9], -v[84:85]
	v_fma_f64 v[94:95], v[78:79], s[8:9], v[94:95]
	v_add_f64_e32 v[28:29], v[28:29], v[40:41]
	v_add_f64_e32 v[30:31], v[36:37], v[30:31]
	v_mul_f64_e32 v[36:37], s[22:23], v[54:55]
	v_mul_f64_e32 v[40:41], s[22:23], v[64:65]
	v_fma_f64 v[173:174], v[32:33], s[8:9], v[46:47]
	v_fma_f64 v[46:47], v[32:33], s[8:9], -v[46:47]
	v_fma_f64 v[183:184], v[32:33], s[0:1], -v[56:57]
	v_fma_f64 v[32:33], v[32:33], s[0:1], v[56:57]
	v_fma_f64 v[56:57], v[34:35], s[0:1], -v[154:155]
	v_fma_f64 v[154:155], v[42:43], s[2:3], v[122:123]
	;; [unrolled: 2-line block ×3, first 2 shown]
	v_fma_f64 v[199:200], v[78:79], s[16:17], -v[62:63]
	v_fma_f64 v[52:53], v[72:73], s[16:17], -v[52:53]
	v_add_f64_e32 v[114:115], v[0:1], v[114:115]
	v_add_f64_e32 v[88:89], v[2:3], v[88:89]
	;; [unrolled: 1-line block ×3, first 2 shown]
	v_fma_f64 v[62:63], v[78:79], s[16:17], v[62:63]
	v_mul_f64_e32 v[116:117], s[24:25], v[48:49]
	v_add_f64_e32 v[124:125], v[2:3], v[124:125]
	v_mul_f64_e32 v[136:137], s[26:27], v[48:49]
	v_add_f64_e32 v[152:153], v[2:3], v[152:153]
	;; [unrolled: 2-line block ×3, first 2 shown]
	v_fma_f64 v[64:65], v[70:71], s[0:1], v[82:83]
	v_fma_f64 v[165:166], v[76:77], s[0:1], -v[92:93]
	v_fma_f64 v[82:83], v[70:71], s[0:1], -v[82:83]
	v_fma_f64 v[92:93], v[76:77], s[0:1], v[92:93]
	v_mul_f64_e32 v[126:127], s[24:25], v[58:59]
	v_mul_f64_e32 v[144:145], s[26:27], v[58:59]
	;; [unrolled: 1-line block ×3, first 2 shown]
	v_fma_f64 v[54:55], v[68:69], s[16:17], v[80:81]
	v_fma_f64 v[163:164], v[74:75], s[16:17], -v[90:91]
	v_fma_f64 v[80:81], v[68:69], s[16:17], -v[80:81]
	v_fma_f64 v[90:91], v[74:75], s[16:17], v[90:91]
	v_add_f64_e32 v[22:23], v[22:23], v[28:29]
	v_add_f64_e32 v[20:21], v[20:21], v[30:31]
	v_fma_f64 v[28:29], v[34:35], s[10:11], v[66:67]
	v_fma_f64 v[30:31], v[34:35], s[10:11], -v[66:67]
	v_fma_f64 v[34:35], v[42:43], s[16:17], v[44:45]
	v_fma_f64 v[66:67], v[38:39], s[16:17], -v[112:113]
	v_fma_f64 v[44:45], v[42:43], s[16:17], -v[44:45]
	v_fma_f64 v[112:113], v[38:39], s[16:17], v[112:113]
	v_fma_f64 v[193:194], v[42:43], s[0:1], v[36:37]
	v_fma_f64 v[195:196], v[38:39], s[0:1], -v[40:41]
	v_fma_f64 v[36:37], v[42:43], s[0:1], -v[36:37]
	v_fma_f64 v[38:39], v[38:39], s[0:1], v[40:41]
	v_add_f64_e32 v[40:41], v[2:3], v[161:162]
	v_add_f64_e32 v[42:43], v[0:1], v[171:172]
	;; [unrolled: 1-line block ×12, first 2 shown]
	v_fma_f64 v[56:57], v[78:79], s[10:11], v[110:111]
	v_fma_f64 v[183:184], v[72:73], s[2:3], v[140:141]
	v_fma_f64 v[185:186], v[78:79], s[2:3], -v[148:149]
	v_fma_f64 v[140:141], v[72:73], s[2:3], -v[140:141]
	v_fma_f64 v[148:149], v[78:79], s[2:3], v[148:149]
	v_add_f64_e32 v[22:23], v[26:27], v[22:23]
	v_add_f64_e32 v[20:21], v[24:25], v[20:21]
	v_add_f64_e32 v[24:25], v[0:1], v[28:29]
	v_add_f64_e32 v[0:1], v[0:1], v[30:31]
	v_fma_f64 v[26:27], v[72:73], s[10:11], v[104:105]
	v_fma_f64 v[28:29], v[78:79], s[10:11], -v[110:111]
	v_fma_f64 v[30:31], v[72:73], s[10:11], -v[104:105]
	v_fma_f64 v[104:105], v[72:73], s[0:1], v[120:121]
	v_fma_f64 v[110:111], v[78:79], s[0:1], -v[130:131]
	v_fma_f64 v[120:121], v[72:73], s[0:1], -v[120:121]
	v_fma_f64 v[130:131], v[78:79], s[0:1], v[130:131]
	v_add_f64_e32 v[72:73], v[86:87], v[88:89]
	v_add_f64_e32 v[40:41], v[159:160], v[40:41]
	;; [unrolled: 1-line block ×18, first 2 shown]
	v_fma_f64 v[132:133], v[70:71], s[16:17], v[138:139]
	v_fma_f64 v[134:135], v[76:77], s[16:17], -v[146:147]
	v_fma_f64 v[138:139], v[70:71], s[16:17], -v[138:139]
	v_fma_f64 v[142:143], v[76:77], s[16:17], v[146:147]
	v_fma_f64 v[146:147], v[70:71], s[8:9], v[50:51]
	v_fma_f64 v[50:51], v[70:71], s[8:9], -v[50:51]
	v_fma_f64 v[124:125], v[76:77], s[10:11], -v[128:129]
	v_fma_f64 v[128:129], v[76:77], s[10:11], v[128:129]
	v_fma_f64 v[150:151], v[76:77], s[8:9], -v[60:61]
	v_add_f64_e32 v[18:19], v[18:19], v[22:23]
	v_add_f64_e32 v[16:17], v[16:17], v[20:21]
	;; [unrolled: 1-line block ×4, first 2 shown]
	v_fma_f64 v[22:23], v[70:71], s[2:3], v[102:103]
	v_fma_f64 v[24:25], v[76:77], s[2:3], -v[108:109]
	v_fma_f64 v[38:39], v[70:71], s[2:3], -v[102:103]
	v_fma_f64 v[102:103], v[76:77], s[2:3], v[108:109]
	v_fma_f64 v[108:109], v[70:71], s[10:11], v[118:119]
	v_fma_f64 v[118:119], v[70:71], s[10:11], -v[118:119]
	v_fma_f64 v[60:61], v[76:77], s[8:9], v[60:61]
	v_add_f64_e32 v[70:71], v[84:85], v[72:73]
	v_add_f64_e32 v[40:41], v[157:158], v[40:41]
	;; [unrolled: 1-line block ×18, first 2 shown]
	v_fma_f64 v[84:85], v[74:75], s[0:1], v[106:107]
	v_fma_f64 v[86:87], v[68:69], s[8:9], v[116:117]
	v_fma_f64 v[94:95], v[68:69], s[8:9], -v[116:117]
	v_fma_f64 v[98:99], v[68:69], s[10:11], v[136:137]
	v_fma_f64 v[104:105], v[68:69], s[10:11], -v[136:137]
	;; [unrolled: 2-line block ×3, first 2 shown]
	v_fma_f64 v[88:89], v[74:75], s[8:9], -v[126:127]
	v_fma_f64 v[96:97], v[74:75], s[8:9], v[126:127]
	v_add_f64_e32 v[14:15], v[14:15], v[18:19]
	v_add_f64_e32 v[12:13], v[12:13], v[16:17]
	;; [unrolled: 1-line block ×4, first 2 shown]
	v_fma_f64 v[18:19], v[68:69], s[0:1], v[100:101]
	v_fma_f64 v[62:63], v[68:69], s[0:1], -v[100:101]
	v_fma_f64 v[20:21], v[74:75], s[0:1], -v[106:107]
	v_fma_f64 v[106:107], v[74:75], s[10:11], v[144:145]
	v_fma_f64 v[100:101], v[74:75], s[10:11], -v[144:145]
	v_fma_f64 v[112:113], v[74:75], s[2:3], -v[58:59]
	v_fma_f64 v[58:59], v[74:75], s[2:3], v[58:59]
	v_add_f64_e32 v[40:41], v[64:65], v[40:41]
	v_add_f64_e32 v[64:65], v[82:83], v[70:71]
	;; [unrolled: 1-line block ×44, first 2 shown]
	ds_store_b128 v255, v[16:19] offset:8704
	ds_store_b128 v255, v[8:11] offset:10880
	;; [unrolled: 1-line block ×8, first 2 shown]
	ds_store_b128 v255, v[4:7]
	ds_store_b128 v255, v[32:35] offset:2176
	ds_store_b128 v255, v[28:31] offset:21760
.LBB0_21:
	s_wait_alu 0xfffe
	s_or_b32 exec_lo, exec_lo, s18
	global_wb scope:SCOPE_SE
	s_wait_dscnt 0x0
	s_barrier_signal -1
	s_barrier_wait -1
	global_inv scope:SCOPE_SE
	s_and_b32 exec_lo, exec_lo, vcc_lo
	s_cbranch_execz .LBB0_23
; %bb.22:
	global_load_b128 v[0:3], v255, s[12:13]
	ds_load_b128 v[4:7], v255
	ds_load_b128 v[8:11], v255 offset:1408
	ds_load_b128 v[12:15], v255 offset:22528
	s_mov_b32 s0, 0xb8d015e7
	s_mov_b32 s1, 0x3f45e75b
	s_mul_u64 s[2:3], s[4:5], 0x580
	s_wait_loadcnt_dscnt 0x2
	v_mul_f64_e32 v[16:17], v[6:7], v[2:3]
	v_mul_f64_e32 v[2:3], v[4:5], v[2:3]
	s_delay_alu instid0(VALU_DEP_2) | instskip(NEXT) | instid1(VALU_DEP_2)
	v_fma_f64 v[4:5], v[4:5], v[0:1], v[16:17]
	v_fma_f64 v[2:3], v[0:1], v[6:7], -v[2:3]
	scratch_load_b64 v[0:1], off, off th:TH_LOAD_LU ; 8-byte Folded Reload
	v_mad_co_u64_u32 v[16:17], null, s4, v156, 0
	s_wait_alu 0xfffe
	v_mul_f64_e32 v[2:3], s[0:1], v[2:3]
	s_wait_loadcnt 0x0
	v_mov_b32_e32 v18, v0
	v_mul_f64_e32 v[0:1], s[0:1], v[4:5]
	s_delay_alu instid0(VALU_DEP_4) | instskip(NEXT) | instid1(VALU_DEP_3)
	v_mov_b32_e32 v5, v17
	v_mad_co_u64_u32 v[6:7], null, s6, v18, 0
	s_delay_alu instid0(VALU_DEP_1) | instskip(NEXT) | instid1(VALU_DEP_1)
	v_mov_b32_e32 v4, v7
	v_mad_co_u64_u32 v[17:18], null, s7, v18, v[4:5]
	s_delay_alu instid0(VALU_DEP_3) | instskip(NEXT) | instid1(VALU_DEP_2)
	v_mad_co_u64_u32 v[4:5], null, s5, v156, v[5:6]
	v_mov_b32_e32 v7, v17
	s_delay_alu instid0(VALU_DEP_2) | instskip(NEXT) | instid1(VALU_DEP_2)
	v_mov_b32_e32 v17, v4
	v_lshlrev_b64_e32 v[4:5], 4, v[6:7]
	s_delay_alu instid0(VALU_DEP_2) | instskip(NEXT) | instid1(VALU_DEP_2)
	v_lshlrev_b64_e32 v[6:7], 4, v[16:17]
	v_add_co_u32 v20, vcc_lo, s14, v4
	s_delay_alu instid0(VALU_DEP_3) | instskip(NEXT) | instid1(VALU_DEP_2)
	v_add_co_ci_u32_e32 v21, vcc_lo, s15, v5, vcc_lo
	v_add_co_u32 v4, vcc_lo, v20, v6
	s_wait_alu 0xfffd
	s_delay_alu instid0(VALU_DEP_2) | instskip(NEXT) | instid1(VALU_DEP_2)
	v_add_co_ci_u32_e32 v5, vcc_lo, v21, v7, vcc_lo
	v_add_co_u32 v16, vcc_lo, v4, s2
	global_store_b128 v[4:5], v[0:3], off
	global_load_b128 v[0:3], v255, s[12:13] offset:1408
	s_wait_alu 0xfffd
	v_add_co_ci_u32_e32 v17, vcc_lo, s3, v5, vcc_lo
	s_wait_loadcnt_dscnt 0x1
	v_mul_f64_e32 v[6:7], v[10:11], v[2:3]
	v_mul_f64_e32 v[2:3], v[8:9], v[2:3]
	s_delay_alu instid0(VALU_DEP_2) | instskip(NEXT) | instid1(VALU_DEP_2)
	v_fma_f64 v[6:7], v[8:9], v[0:1], v[6:7]
	v_fma_f64 v[2:3], v[0:1], v[10:11], -v[2:3]
	s_delay_alu instid0(VALU_DEP_2) | instskip(NEXT) | instid1(VALU_DEP_2)
	v_mul_f64_e32 v[0:1], s[0:1], v[6:7]
	v_mul_f64_e32 v[2:3], s[0:1], v[2:3]
	global_store_b128 v[16:17], v[0:3], off
	global_load_b128 v[0:3], v255, s[12:13] offset:2816
	ds_load_b128 v[4:7], v255 offset:2816
	ds_load_b128 v[8:11], v255 offset:4224
	s_wait_loadcnt_dscnt 0x1
	v_mul_f64_e32 v[18:19], v[6:7], v[2:3]
	v_mul_f64_e32 v[2:3], v[4:5], v[2:3]
	s_delay_alu instid0(VALU_DEP_2) | instskip(NEXT) | instid1(VALU_DEP_2)
	v_fma_f64 v[4:5], v[4:5], v[0:1], v[18:19]
	v_fma_f64 v[2:3], v[0:1], v[6:7], -v[2:3]
	s_delay_alu instid0(VALU_DEP_2) | instskip(NEXT) | instid1(VALU_DEP_2)
	v_mul_f64_e32 v[0:1], s[0:1], v[4:5]
	v_mul_f64_e32 v[2:3], s[0:1], v[2:3]
	v_add_co_u32 v4, vcc_lo, v16, s2
	s_wait_alu 0xfffd
	v_add_co_ci_u32_e32 v5, vcc_lo, s3, v17, vcc_lo
	s_delay_alu instid0(VALU_DEP_2) | instskip(SKIP_1) | instid1(VALU_DEP_2)
	v_add_co_u32 v16, vcc_lo, v4, s2
	s_wait_alu 0xfffd
	v_add_co_ci_u32_e32 v17, vcc_lo, s3, v5, vcc_lo
	global_store_b128 v[4:5], v[0:3], off
	global_load_b128 v[0:3], v255, s[12:13] offset:4224
	s_wait_loadcnt_dscnt 0x0
	v_mul_f64_e32 v[6:7], v[10:11], v[2:3]
	v_mul_f64_e32 v[2:3], v[8:9], v[2:3]
	s_delay_alu instid0(VALU_DEP_2) | instskip(NEXT) | instid1(VALU_DEP_2)
	v_fma_f64 v[6:7], v[8:9], v[0:1], v[6:7]
	v_fma_f64 v[2:3], v[0:1], v[10:11], -v[2:3]
	s_delay_alu instid0(VALU_DEP_2) | instskip(NEXT) | instid1(VALU_DEP_2)
	v_mul_f64_e32 v[0:1], s[0:1], v[6:7]
	v_mul_f64_e32 v[2:3], s[0:1], v[2:3]
	global_store_b128 v[16:17], v[0:3], off
	global_load_b128 v[0:3], v255, s[12:13] offset:5632
	ds_load_b128 v[4:7], v255 offset:5632
	ds_load_b128 v[8:11], v255 offset:7040
	s_wait_loadcnt_dscnt 0x1
	v_mul_f64_e32 v[18:19], v[6:7], v[2:3]
	v_mul_f64_e32 v[2:3], v[4:5], v[2:3]
	s_delay_alu instid0(VALU_DEP_2) | instskip(NEXT) | instid1(VALU_DEP_2)
	v_fma_f64 v[4:5], v[4:5], v[0:1], v[18:19]
	v_fma_f64 v[2:3], v[0:1], v[6:7], -v[2:3]
	s_delay_alu instid0(VALU_DEP_2) | instskip(NEXT) | instid1(VALU_DEP_2)
	v_mul_f64_e32 v[0:1], s[0:1], v[4:5]
	v_mul_f64_e32 v[2:3], s[0:1], v[2:3]
	v_add_co_u32 v4, vcc_lo, v16, s2
	s_wait_alu 0xfffd
	v_add_co_ci_u32_e32 v5, vcc_lo, s3, v17, vcc_lo
	s_delay_alu instid0(VALU_DEP_2) | instskip(SKIP_1) | instid1(VALU_DEP_2)
	v_add_co_u32 v16, vcc_lo, v4, s2
	s_wait_alu 0xfffd
	v_add_co_ci_u32_e32 v17, vcc_lo, s3, v5, vcc_lo
	global_store_b128 v[4:5], v[0:3], off
	global_load_b128 v[0:3], v255, s[12:13] offset:7040
	;; [unrolled: 31-line block ×6, first 2 shown]
	s_wait_loadcnt_dscnt 0x0
	v_mul_f64_e32 v[6:7], v[10:11], v[2:3]
	v_mul_f64_e32 v[2:3], v[8:9], v[2:3]
	s_delay_alu instid0(VALU_DEP_2) | instskip(NEXT) | instid1(VALU_DEP_2)
	v_fma_f64 v[6:7], v[8:9], v[0:1], v[6:7]
	v_fma_f64 v[2:3], v[0:1], v[10:11], -v[2:3]
	s_delay_alu instid0(VALU_DEP_2) | instskip(NEXT) | instid1(VALU_DEP_2)
	v_mul_f64_e32 v[0:1], s[0:1], v[6:7]
	v_mul_f64_e32 v[2:3], s[0:1], v[2:3]
	global_store_b128 v[16:17], v[0:3], off
	global_load_b128 v[0:3], v255, s[12:13] offset:19712
	ds_load_b128 v[4:7], v255 offset:19712
	ds_load_b128 v[8:11], v255 offset:21120
	s_wait_loadcnt_dscnt 0x1
	v_mul_f64_e32 v[18:19], v[6:7], v[2:3]
	v_mul_f64_e32 v[2:3], v[4:5], v[2:3]
	s_delay_alu instid0(VALU_DEP_2) | instskip(NEXT) | instid1(VALU_DEP_2)
	v_fma_f64 v[4:5], v[4:5], v[0:1], v[18:19]
	v_fma_f64 v[2:3], v[0:1], v[6:7], -v[2:3]
	s_delay_alu instid0(VALU_DEP_2) | instskip(NEXT) | instid1(VALU_DEP_2)
	v_mul_f64_e32 v[0:1], s[0:1], v[4:5]
	v_mul_f64_e32 v[2:3], s[0:1], v[2:3]
	v_add_co_u32 v4, vcc_lo, v16, s2
	s_wait_alu 0xfffd
	v_add_co_ci_u32_e32 v5, vcc_lo, s3, v17, vcc_lo
	global_store_b128 v[4:5], v[0:3], off
	global_load_b128 v[0:3], v255, s[12:13] offset:21120
	v_add_co_u32 v4, vcc_lo, v4, s2
	s_wait_alu 0xfffd
	v_add_co_ci_u32_e32 v5, vcc_lo, s3, v5, vcc_lo
	s_wait_loadcnt_dscnt 0x0
	v_mul_f64_e32 v[6:7], v[10:11], v[2:3]
	v_mul_f64_e32 v[2:3], v[8:9], v[2:3]
	s_delay_alu instid0(VALU_DEP_2) | instskip(NEXT) | instid1(VALU_DEP_2)
	v_fma_f64 v[6:7], v[8:9], v[0:1], v[6:7]
	v_fma_f64 v[2:3], v[0:1], v[10:11], -v[2:3]
	scratch_load_b32 v8, off, off offset:8 th:TH_LOAD_LU ; 4-byte Folded Reload
	v_mul_f64_e32 v[0:1], s[0:1], v[6:7]
	v_mul_f64_e32 v[2:3], s[0:1], v[2:3]
	global_store_b128 v[4:5], v[0:3], off
	global_load_b128 v[0:3], v255, s[12:13] offset:22528
	s_wait_loadcnt 0x1
	v_mad_co_u64_u32 v[6:7], null, s4, v8, 0
	s_wait_loadcnt 0x0
	v_mul_f64_e32 v[4:5], v[14:15], v[2:3]
	v_mul_f64_e32 v[2:3], v[12:13], v[2:3]
	s_delay_alu instid0(VALU_DEP_2) | instskip(NEXT) | instid1(VALU_DEP_2)
	v_fma_f64 v[4:5], v[12:13], v[0:1], v[4:5]
	v_fma_f64 v[2:3], v[0:1], v[14:15], -v[2:3]
	s_delay_alu instid0(VALU_DEP_2) | instskip(SKIP_1) | instid1(VALU_DEP_3)
	v_mul_f64_e32 v[0:1], s[0:1], v[4:5]
	v_mov_b32_e32 v4, v7
	v_mul_f64_e32 v[2:3], s[0:1], v[2:3]
	s_delay_alu instid0(VALU_DEP_2) | instskip(NEXT) | instid1(VALU_DEP_1)
	v_mad_co_u64_u32 v[4:5], null, s5, v8, v[4:5]
	v_mov_b32_e32 v7, v4
	s_delay_alu instid0(VALU_DEP_1) | instskip(NEXT) | instid1(VALU_DEP_1)
	v_lshlrev_b64_e32 v[4:5], 4, v[6:7]
	v_add_co_u32 v4, vcc_lo, v20, v4
	s_wait_alu 0xfffd
	s_delay_alu instid0(VALU_DEP_2)
	v_add_co_ci_u32_e32 v5, vcc_lo, v21, v5, vcc_lo
	global_store_b128 v[4:5], v[0:3], off
.LBB0_23:
	s_endpgm
	.section	.rodata,"a",@progbits
	.p2align	6, 0x0
	.amdhsa_kernel bluestein_single_back_len1496_dim1_dp_op_CI_CI
		.amdhsa_group_segment_fixed_size 23936
		.amdhsa_private_segment_fixed_size 464
		.amdhsa_kernarg_size 104
		.amdhsa_user_sgpr_count 2
		.amdhsa_user_sgpr_dispatch_ptr 0
		.amdhsa_user_sgpr_queue_ptr 0
		.amdhsa_user_sgpr_kernarg_segment_ptr 1
		.amdhsa_user_sgpr_dispatch_id 0
		.amdhsa_user_sgpr_private_segment_size 0
		.amdhsa_wavefront_size32 1
		.amdhsa_uses_dynamic_stack 0
		.amdhsa_enable_private_segment 1
		.amdhsa_system_sgpr_workgroup_id_x 1
		.amdhsa_system_sgpr_workgroup_id_y 0
		.amdhsa_system_sgpr_workgroup_id_z 0
		.amdhsa_system_sgpr_workgroup_info 0
		.amdhsa_system_vgpr_workitem_id 0
		.amdhsa_next_free_vgpr 256
		.amdhsa_next_free_sgpr 60
		.amdhsa_reserve_vcc 1
		.amdhsa_float_round_mode_32 0
		.amdhsa_float_round_mode_16_64 0
		.amdhsa_float_denorm_mode_32 3
		.amdhsa_float_denorm_mode_16_64 3
		.amdhsa_fp16_overflow 0
		.amdhsa_workgroup_processor_mode 1
		.amdhsa_memory_ordered 1
		.amdhsa_forward_progress 0
		.amdhsa_round_robin_scheduling 0
		.amdhsa_exception_fp_ieee_invalid_op 0
		.amdhsa_exception_fp_denorm_src 0
		.amdhsa_exception_fp_ieee_div_zero 0
		.amdhsa_exception_fp_ieee_overflow 0
		.amdhsa_exception_fp_ieee_underflow 0
		.amdhsa_exception_fp_ieee_inexact 0
		.amdhsa_exception_int_div_zero 0
	.end_amdhsa_kernel
	.text
.Lfunc_end0:
	.size	bluestein_single_back_len1496_dim1_dp_op_CI_CI, .Lfunc_end0-bluestein_single_back_len1496_dim1_dp_op_CI_CI
                                        ; -- End function
	.section	.AMDGPU.csdata,"",@progbits
; Kernel info:
; codeLenInByte = 24136
; NumSgprs: 62
; NumVgprs: 256
; ScratchSize: 464
; MemoryBound: 0
; FloatMode: 240
; IeeeMode: 1
; LDSByteSize: 23936 bytes/workgroup (compile time only)
; SGPRBlocks: 7
; VGPRBlocks: 31
; NumSGPRsForWavesPerEU: 62
; NumVGPRsForWavesPerEU: 256
; Occupancy: 5
; WaveLimiterHint : 1
; COMPUTE_PGM_RSRC2:SCRATCH_EN: 1
; COMPUTE_PGM_RSRC2:USER_SGPR: 2
; COMPUTE_PGM_RSRC2:TRAP_HANDLER: 0
; COMPUTE_PGM_RSRC2:TGID_X_EN: 1
; COMPUTE_PGM_RSRC2:TGID_Y_EN: 0
; COMPUTE_PGM_RSRC2:TGID_Z_EN: 0
; COMPUTE_PGM_RSRC2:TIDIG_COMP_CNT: 0
	.text
	.p2alignl 7, 3214868480
	.fill 96, 4, 3214868480
	.type	__hip_cuid_ba90e2436f0681f2,@object ; @__hip_cuid_ba90e2436f0681f2
	.section	.bss,"aw",@nobits
	.globl	__hip_cuid_ba90e2436f0681f2
__hip_cuid_ba90e2436f0681f2:
	.byte	0                               ; 0x0
	.size	__hip_cuid_ba90e2436f0681f2, 1

	.ident	"AMD clang version 19.0.0git (https://github.com/RadeonOpenCompute/llvm-project roc-6.4.0 25133 c7fe45cf4b819c5991fe208aaa96edf142730f1d)"
	.section	".note.GNU-stack","",@progbits
	.addrsig
	.addrsig_sym __hip_cuid_ba90e2436f0681f2
	.amdgpu_metadata
---
amdhsa.kernels:
  - .args:
      - .actual_access:  read_only
        .address_space:  global
        .offset:         0
        .size:           8
        .value_kind:     global_buffer
      - .actual_access:  read_only
        .address_space:  global
        .offset:         8
        .size:           8
        .value_kind:     global_buffer
      - .actual_access:  read_only
        .address_space:  global
        .offset:         16
        .size:           8
        .value_kind:     global_buffer
      - .actual_access:  read_only
        .address_space:  global
        .offset:         24
        .size:           8
        .value_kind:     global_buffer
      - .actual_access:  read_only
        .address_space:  global
        .offset:         32
        .size:           8
        .value_kind:     global_buffer
      - .offset:         40
        .size:           8
        .value_kind:     by_value
      - .address_space:  global
        .offset:         48
        .size:           8
        .value_kind:     global_buffer
      - .address_space:  global
        .offset:         56
        .size:           8
        .value_kind:     global_buffer
      - .address_space:  global
        .offset:         64
        .size:           8
        .value_kind:     global_buffer
      - .address_space:  global
        .offset:         72
        .size:           8
        .value_kind:     global_buffer
      - .offset:         80
        .size:           4
        .value_kind:     by_value
      - .address_space:  global
        .offset:         88
        .size:           8
        .value_kind:     global_buffer
      - .address_space:  global
        .offset:         96
        .size:           8
        .value_kind:     global_buffer
    .group_segment_fixed_size: 23936
    .kernarg_segment_align: 8
    .kernarg_segment_size: 104
    .language:       OpenCL C
    .language_version:
      - 2
      - 0
    .max_flat_workgroup_size: 187
    .name:           bluestein_single_back_len1496_dim1_dp_op_CI_CI
    .private_segment_fixed_size: 464
    .sgpr_count:     62
    .sgpr_spill_count: 0
    .symbol:         bluestein_single_back_len1496_dim1_dp_op_CI_CI.kd
    .uniform_work_group_size: 1
    .uses_dynamic_stack: false
    .vgpr_count:     256
    .vgpr_spill_count: 137
    .wavefront_size: 32
    .workgroup_processor_mode: 1
amdhsa.target:   amdgcn-amd-amdhsa--gfx1201
amdhsa.version:
  - 1
  - 2
...

	.end_amdgpu_metadata
